;; amdgpu-corpus repo=ROCm/rocFFT kind=compiled arch=gfx906 opt=O3
	.text
	.amdgcn_target "amdgcn-amd-amdhsa--gfx906"
	.amdhsa_code_object_version 6
	.protected	bluestein_single_back_len6144_dim1_sp_op_CI_CI ; -- Begin function bluestein_single_back_len6144_dim1_sp_op_CI_CI
	.globl	bluestein_single_back_len6144_dim1_sp_op_CI_CI
	.p2align	8
	.type	bluestein_single_back_len6144_dim1_sp_op_CI_CI,@function
bluestein_single_back_len6144_dim1_sp_op_CI_CI: ; @bluestein_single_back_len6144_dim1_sp_op_CI_CI
; %bb.0:
	s_load_dwordx4 s[0:3], s[4:5], 0x28
	s_mov_b32 s7, 0
	s_waitcnt lgkmcnt(0)
	v_mov_b32_e32 v1, s0
	v_mov_b32_e32 v2, s1
	v_cmp_lt_u64_e32 vcc, s[6:7], v[1:2]
	s_and_saveexec_b64 s[0:1], vcc
	s_cbranch_execz .LBB0_23
; %bb.1:
	s_load_dwordx2 s[8:9], s[4:5], 0x0
	s_load_dwordx2 s[10:11], s[4:5], 0x38
	v_mov_b32_e32 v66, s7
	s_movk_i32 s0, 0x180
	v_mov_b32_e32 v65, s6
	v_cmp_gt_u32_e64 s[0:1], s0, v0
	v_lshlrev_b32_e32 v76, 3, v0
	s_and_saveexec_b64 s[6:7], s[0:1]
	s_cbranch_execz .LBB0_3
; %bb.2:
	s_load_dwordx2 s[12:13], s[4:5], 0x18
	v_or_b32_e32 v23, 0x3000, v76
	v_or_b32_e32 v39, 0x6000, v76
	;; [unrolled: 1-line block ×3, first 2 shown]
	s_waitcnt lgkmcnt(0)
	s_load_dwordx4 s[12:15], s[12:13], 0x0
	s_waitcnt lgkmcnt(0)
	v_mad_u64_u32 v[1:2], s[16:17], s14, v65, 0
	v_mad_u64_u32 v[3:4], s[16:17], s12, v0, 0
	;; [unrolled: 1-line block ×4, first 2 shown]
	v_mov_b32_e32 v2, v5
	v_lshlrev_b64 v[1:2], 3, v[1:2]
	v_mov_b32_e32 v4, v6
	v_mov_b32_e32 v7, s3
	v_lshlrev_b64 v[3:4], 3, v[3:4]
	v_add_co_u32_e32 v1, vcc, s2, v1
	v_addc_co_u32_e32 v2, vcc, v7, v2, vcc
	v_add_co_u32_e32 v11, vcc, v1, v3
	v_addc_co_u32_e32 v12, vcc, v2, v4, vcc
	v_mov_b32_e32 v1, s9
	v_add_co_u32_e32 v16, vcc, s8, v76
	s_mul_i32 s2, s13, 0xc00
	s_mul_hi_u32 s3, s12, 0xc00
	v_addc_co_u32_e32 v15, vcc, 0, v1, vcc
	s_add_i32 s2, s3, s2
	s_mul_i32 s3, s12, 0xc00
	v_mov_b32_e32 v1, s2
	v_add_co_u32_e32 v13, vcc, s3, v11
	v_addc_co_u32_e32 v14, vcc, v12, v1, vcc
	v_mov_b32_e32 v5, s2
	v_add_co_u32_e32 v17, vcc, s3, v13
	v_addc_co_u32_e32 v18, vcc, v14, v5, vcc
	s_movk_i32 s12, 0x1000
	global_load_dwordx2 v[1:2], v76, s[8:9]
	global_load_dwordx2 v[3:4], v76, s[8:9] offset:3072
	global_load_dwordx2 v[9:10], v[11:12], off
	global_load_dwordx2 v[7:8], v[13:14], off
	global_load_dwordx2 v[5:6], v[17:18], off
	v_add_co_u32_e32 v11, vcc, s12, v16
	v_addc_co_u32_e32 v12, vcc, 0, v15, vcc
	v_mov_b32_e32 v13, s2
	v_add_co_u32_e32 v17, vcc, s3, v17
	v_addc_co_u32_e32 v18, vcc, v18, v13, vcc
	s_movk_i32 s12, 0x2000
	v_add_co_u32_e32 v19, vcc, s12, v16
	v_addc_co_u32_e32 v20, vcc, 0, v15, vcc
	global_load_dwordx2 v[13:14], v[17:18], off
	v_mov_b32_e32 v21, s2
	v_add_co_u32_e32 v17, vcc, s3, v17
	v_addc_co_u32_e32 v18, vcc, v18, v21, vcc
	global_load_dwordx2 v[21:22], v[17:18], off
	v_mov_b32_e32 v25, s2
	v_add_co_u32_e32 v17, vcc, s3, v17
	s_movk_i32 s12, 0x3000
	v_addc_co_u32_e32 v18, vcc, v18, v25, vcc
	v_add_co_u32_e32 v27, vcc, s12, v16
	v_addc_co_u32_e32 v28, vcc, 0, v15, vcc
	global_load_dwordx2 v[25:26], v[17:18], off
	v_mov_b32_e32 v29, s2
	v_add_co_u32_e32 v17, vcc, s3, v17
	v_addc_co_u32_e32 v18, vcc, v18, v29, vcc
	s_movk_i32 s12, 0x4000
	v_add_co_u32_e32 v31, vcc, s12, v16
	v_addc_co_u32_e32 v32, vcc, 0, v15, vcc
	global_load_dwordx2 v[29:30], v[17:18], off
	v_mov_b32_e32 v33, s2
	v_add_co_u32_e32 v17, vcc, s3, v17
	v_addc_co_u32_e32 v18, vcc, v18, v33, vcc
	s_movk_i32 s12, 0x5000
	v_add_co_u32_e32 v35, vcc, s12, v16
	v_addc_co_u32_e32 v36, vcc, 0, v15, vcc
	global_load_dwordx2 v[33:34], v[17:18], off
	v_mov_b32_e32 v37, s2
	v_add_co_u32_e32 v17, vcc, s3, v17
	v_addc_co_u32_e32 v18, vcc, v18, v37, vcc
	global_load_dwordx2 v[37:38], v[17:18], off
	v_mov_b32_e32 v41, s2
	v_add_co_u32_e32 v17, vcc, s3, v17
	s_movk_i32 s12, 0x6000
	v_addc_co_u32_e32 v18, vcc, v18, v41, vcc
	v_add_co_u32_e32 v43, vcc, s12, v16
	v_addc_co_u32_e32 v44, vcc, 0, v15, vcc
	global_load_dwordx2 v[41:42], v[17:18], off
	v_mov_b32_e32 v45, s2
	v_add_co_u32_e32 v17, vcc, s3, v17
	v_addc_co_u32_e32 v18, vcc, v18, v45, vcc
	s_movk_i32 s12, 0x7000
	v_add_co_u32_e32 v47, vcc, s12, v16
	v_addc_co_u32_e32 v48, vcc, 0, v15, vcc
	global_load_dwordx2 v[45:46], v[17:18], off
	v_mov_b32_e32 v49, s2
	v_add_co_u32_e32 v17, vcc, s3, v17
	v_addc_co_u32_e32 v18, vcc, v18, v49, vcc
	s_mov_b32 s12, 0x8000
	v_add_co_u32_e32 v51, vcc, s12, v16
	v_addc_co_u32_e32 v52, vcc, 0, v15, vcc
	global_load_dwordx2 v[49:50], v[17:18], off
	v_mov_b32_e32 v53, s2
	v_add_co_u32_e32 v17, vcc, s3, v17
	v_addc_co_u32_e32 v18, vcc, v18, v53, vcc
	global_load_dwordx2 v[11:12], v[11:12], off offset:2048
	v_mov_b32_e32 v57, s2
	global_load_dwordx2 v[55:56], v55, s[8:9]
	s_mov_b32 s12, 0x9000
	global_load_dwordx2 v[19:20], v[19:20], off offset:1024
	v_mov_b32_e32 v61, s2
	global_load_dwordx2 v[27:28], v[27:28], off offset:3072
	v_mov_b32_e32 v66, s2
	global_load_dwordx2 v[31:32], v[31:32], off offset:2048
	s_nop 0
	global_load_dwordx2 v[35:36], v[35:36], off offset:1024
	s_nop 0
	global_load_dwordx2 v[53:54], v[17:18], off
	v_add_co_u32_e32 v17, vcc, s3, v17
	v_addc_co_u32_e32 v18, vcc, v18, v57, vcc
	global_load_dwordx2 v[23:24], v23, s[8:9]
	v_add_co_u32_e32 v59, vcc, s12, v16
	global_load_dwordx2 v[39:40], v39, s[8:9]
	v_addc_co_u32_e32 v60, vcc, 0, v15, vcc
	global_load_dwordx2 v[57:58], v[17:18], off
	v_add_co_u32_e32 v17, vcc, s3, v17
	v_addc_co_u32_e32 v18, vcc, v18, v61, vcc
	s_mov_b32 s12, 0xa000
	global_load_dwordx2 v[43:44], v[43:44], off offset:3072
	v_add_co_u32_e32 v63, vcc, s12, v16
	global_load_dwordx2 v[47:48], v[47:48], off offset:2048
	v_addc_co_u32_e32 v64, vcc, 0, v15, vcc
	global_load_dwordx2 v[51:52], v[51:52], off offset:1024
	s_nop 0
	global_load_dwordx2 v[59:60], v[59:60], off offset:3072
	s_nop 0
	global_load_dwordx2 v[61:62], v[17:18], off
	v_add_co_u32_e32 v17, vcc, s3, v17
	v_addc_co_u32_e32 v18, vcc, v18, v66, vcc
	v_add_co_u32_e32 v66, vcc, 0xb000, v16
	v_addc_co_u32_e32 v67, vcc, 0, v15, vcc
	global_load_dwordx2 v[63:64], v[63:64], off offset:2048
	s_nop 0
	global_load_dwordx2 v[15:16], v[66:67], off offset:1024
	s_waitcnt vmcnt(28)
	v_mul_f32_e32 v66, v10, v2
	global_load_dwordx2 v[17:18], v[17:18], off
	v_mul_f32_e32 v2, v9, v2
	v_fmac_f32_e32 v66, v9, v1
	v_fma_f32 v67, v10, v1, -v2
	s_waitcnt vmcnt(28)
	v_mul_f32_e32 v1, v8, v4
	v_mul_f32_e32 v2, v7, v4
	v_fmac_f32_e32 v1, v7, v3
	v_fma_f32 v2, v8, v3, -v2
	ds_write2st64_b64 v76, v[66:67], v[1:2] offset1:6
	s_waitcnt vmcnt(17)
	v_mul_f32_e32 v1, v6, v12
	v_mul_f32_e32 v2, v5, v12
	v_fmac_f32_e32 v1, v5, v11
	v_fma_f32 v2, v6, v11, -v2
	s_waitcnt vmcnt(15)
	v_mul_f32_e32 v3, v14, v20
	v_mul_f32_e32 v4, v13, v20
	v_fmac_f32_e32 v3, v13, v19
	v_fma_f32 v4, v14, v19, -v4
	ds_write2st64_b64 v76, v[1:2], v[3:4] offset0:12 offset1:18
	s_waitcnt vmcnt(14)
	v_mul_f32_e32 v3, v26, v28
	v_mul_f32_e32 v4, v25, v28
	v_fmac_f32_e32 v3, v25, v27
	v_fma_f32 v4, v26, v27, -v4
	s_waitcnt vmcnt(10)
	v_mul_f32_e32 v1, v22, v24
	v_mul_f32_e32 v2, v21, v24
	v_fmac_f32_e32 v1, v21, v23
	v_fma_f32 v2, v22, v23, -v2
	ds_write2st64_b64 v76, v[1:2], v[3:4] offset0:24 offset1:30
	v_mul_f32_e32 v1, v30, v32
	v_mul_f32_e32 v2, v29, v32
	;; [unrolled: 1-line block ×4, first 2 shown]
	v_fmac_f32_e32 v1, v29, v31
	v_fma_f32 v2, v30, v31, -v2
	v_fmac_f32_e32 v3, v33, v35
	v_fma_f32 v4, v34, v35, -v4
	ds_write2st64_b64 v76, v[1:2], v[3:4] offset0:36 offset1:42
	s_waitcnt vmcnt(9)
	v_mul_f32_e32 v1, v38, v40
	v_mul_f32_e32 v2, v37, v40
	s_waitcnt vmcnt(7)
	v_mul_f32_e32 v3, v42, v44
	v_mul_f32_e32 v4, v41, v44
	v_fmac_f32_e32 v1, v37, v39
	v_fma_f32 v2, v38, v39, -v2
	v_fmac_f32_e32 v3, v41, v43
	v_fma_f32 v4, v42, v43, -v4
	ds_write2st64_b64 v76, v[1:2], v[3:4] offset0:48 offset1:54
	s_waitcnt vmcnt(6)
	v_mul_f32_e32 v1, v46, v48
	v_mul_f32_e32 v2, v45, v48
	s_waitcnt vmcnt(5)
	v_mul_f32_e32 v3, v50, v52
	v_mul_f32_e32 v4, v49, v52
	v_fmac_f32_e32 v1, v45, v47
	v_fma_f32 v2, v46, v47, -v2
	v_fmac_f32_e32 v3, v49, v51
	v_fma_f32 v4, v50, v51, -v4
	ds_write2st64_b64 v76, v[1:2], v[3:4] offset0:60 offset1:66
	v_mul_f32_e32 v1, v54, v56
	v_mul_f32_e32 v2, v53, v56
	s_waitcnt vmcnt(4)
	v_mul_f32_e32 v3, v58, v60
	v_mul_f32_e32 v4, v57, v60
	v_fmac_f32_e32 v1, v53, v55
	v_fma_f32 v2, v54, v55, -v2
	v_fmac_f32_e32 v3, v57, v59
	v_fma_f32 v4, v58, v59, -v4
	ds_write2st64_b64 v76, v[1:2], v[3:4] offset0:72 offset1:78
	s_waitcnt vmcnt(2)
	v_mul_f32_e32 v1, v62, v64
	v_mul_f32_e32 v2, v61, v64
	s_waitcnt vmcnt(0)
	v_mul_f32_e32 v3, v18, v16
	v_mul_f32_e32 v4, v17, v16
	v_fmac_f32_e32 v1, v61, v63
	v_fma_f32 v2, v62, v63, -v2
	v_fmac_f32_e32 v3, v17, v15
	v_fma_f32 v4, v18, v15, -v4
	ds_write2st64_b64 v76, v[1:2], v[3:4] offset0:84 offset1:90
.LBB0_3:
	s_or_b64 exec, exec, s[6:7]
	s_load_dwordx2 s[2:3], s[4:5], 0x20
	s_load_dwordx2 s[12:13], s[4:5], 0x8
	s_waitcnt lgkmcnt(0)
	s_barrier
	s_waitcnt lgkmcnt(0)
                                        ; implicit-def: $vgpr27
                                        ; implicit-def: $vgpr23
                                        ; implicit-def: $vgpr15
                                        ; implicit-def: $vgpr31
                                        ; implicit-def: $vgpr11
                                        ; implicit-def: $vgpr19
                                        ; implicit-def: $vgpr3
                                        ; implicit-def: $vgpr7
	s_and_saveexec_b64 s[4:5], s[0:1]
	s_cbranch_execz .LBB0_5
; %bb.4:
	ds_read2st64_b64 v[5:8], v76 offset1:6
	ds_read2st64_b64 v[1:4], v76 offset0:12 offset1:18
	ds_read2st64_b64 v[13:16], v76 offset0:24 offset1:72
	;; [unrolled: 1-line block ×7, first 2 shown]
.LBB0_5:
	s_or_b64 exec, exec, s[4:5]
	s_waitcnt lgkmcnt(3)
	v_sub_f32_e32 v12, v6, v12
	v_sub_f32_e32 v15, v13, v15
	;; [unrolled: 1-line block ×3, first 2 shown]
	v_fma_f32 v33, v6, 2.0, -v12
	v_fma_f32 v6, v13, 2.0, -v15
	;; [unrolled: 1-line block ×3, first 2 shown]
	s_waitcnt lgkmcnt(2)
	v_sub_f32_e32 v14, v1, v31
	s_waitcnt lgkmcnt(0)
	v_sub_f32_e32 v35, v19, v25
	v_sub_f32_e32 v11, v5, v11
	;; [unrolled: 1-line block ×3, first 2 shown]
	v_fma_f32 v32, v1, 2.0, -v14
	v_sub_f32_e32 v26, v20, v26
	v_fma_f32 v19, v19, 2.0, -v35
	v_sub_f32_e32 v36, v7, v29
	v_sub_f32_e32 v23, v17, v23
	;; [unrolled: 1-line block ×3, first 2 shown]
	v_fma_f32 v5, v5, 2.0, -v11
	v_fma_f32 v34, v2, 2.0, -v31
	;; [unrolled: 1-line block ×3, first 2 shown]
	v_sub_f32_e32 v37, v8, v30
	v_fma_f32 v29, v7, 2.0, -v36
	v_sub_f32_e32 v24, v18, v24
	v_fma_f32 v17, v17, 2.0, -v23
	;; [unrolled: 2-line block ×3, first 2 shown]
	v_sub_f32_e32 v9, v33, v13
	v_sub_f32_e32 v13, v11, v16
	v_add_f32_e32 v25, v15, v12
	v_sub_f32_e32 v19, v32, v19
	v_sub_f32_e32 v26, v14, v26
	v_fma_f32 v8, v8, 2.0, -v37
	v_fma_f32 v18, v18, 2.0, -v24
	v_sub_f32_e32 v22, v4, v22
	v_fma_f32 v38, v3, 2.0, -v21
	v_sub_f32_e32 v28, v10, v28
	v_sub_f32_e32 v6, v5, v6
	v_fma_f32 v2, v33, 2.0, -v9
	v_fma_f32 v3, v11, 2.0, -v13
	;; [unrolled: 1-line block ×3, first 2 shown]
	v_sub_f32_e32 v20, v34, v20
	v_fma_f32 v11, v32, 2.0, -v19
	v_add_f32_e32 v32, v35, v31
	v_fma_f32 v33, v14, 2.0, -v26
	v_sub_f32_e32 v14, v29, v17
	v_fma_f32 v39, v4, 2.0, -v22
	v_fma_f32 v41, v10, 2.0, -v28
	;; [unrolled: 1-line block ×5, first 2 shown]
	v_sub_f32_e32 v16, v8, v18
	v_fma_f32 v4, v29, 2.0, -v14
	v_sub_f32_e32 v29, v36, v24
	v_add_f32_e32 v30, v23, v37
	v_add_f32_e32 v42, v27, v22
	v_mov_b32_e32 v27, v7
	v_mov_b32_e32 v35, v13
	v_fma_f32 v5, v8, 2.0, -v16
	v_fma_f32 v10, v36, 2.0, -v29
	;; [unrolled: 1-line block ×3, first 2 shown]
	v_sub_f32_e32 v18, v39, v41
	v_sub_f32_e32 v41, v21, v28
	;; [unrolled: 1-line block ×4, first 2 shown]
	v_mov_b32_e32 v15, v3
	v_fmac_f32_e32 v27, 0xbf3504f3, v31
	v_fmac_f32_e32 v35, 0x3f3504f3, v26
	v_mov_b32_e32 v37, v25
	v_sub_f32_e32 v17, v38, v40
	v_fma_f32 v24, v39, 2.0, -v18
	v_fma_f32 v21, v21, 2.0, -v41
	;; [unrolled: 1-line block ×3, first 2 shown]
	v_fmac_f32_e32 v15, 0xbf3504f3, v33
	v_fmac_f32_e32 v27, 0x3f3504f3, v33
	;; [unrolled: 1-line block ×4, first 2 shown]
	v_mov_b32_e32 v32, v10
	v_mov_b32_e32 v33, v12
	;; [unrolled: 1-line block ×4, first 2 shown]
	v_fma_f32 v23, v38, 2.0, -v17
	v_fmac_f32_e32 v15, 0xbf3504f3, v31
	v_sub_f32_e32 v31, v6, v20
	v_add_f32_e32 v34, v19, v9
	v_fmac_f32_e32 v37, 0x3f3504f3, v26
	v_fmac_f32_e32 v32, 0xbf3504f3, v21
	;; [unrolled: 1-line block ×5, first 2 shown]
	v_sub_f32_e32 v26, v4, v23
	v_sub_f32_e32 v28, v5, v24
	v_fmac_f32_e32 v32, 0xbf3504f3, v22
	v_fmac_f32_e32 v33, 0x3f3504f3, v21
	v_sub_f32_e32 v36, v14, v18
	v_add_f32_e32 v38, v17, v16
	v_fmac_f32_e32 v39, 0xbf3504f3, v42
	v_fmac_f32_e32 v40, 0x3f3504f3, v41
	v_mov_b32_e32 v19, v15
	v_mov_b32_e32 v20, v27
	;; [unrolled: 1-line block ×6, first 2 shown]
	v_fmac_f32_e32 v19, 0x3ec3ef15, v32
	v_fmac_f32_e32 v20, 0x3ec3ef15, v33
	;; [unrolled: 1-line block ×6, first 2 shown]
	v_sub_f32_e32 v17, v8, v28
	v_add_f32_e32 v18, v26, v11
	v_fmac_f32_e32 v19, 0xbf6c835e, v33
	v_fmac_f32_e32 v20, 0x3f6c835e, v32
	;; [unrolled: 1-line block ×6, first 2 shown]
	s_barrier
	s_and_saveexec_b64 s[4:5], s[0:1]
	s_cbranch_execz .LBB0_7
; %bb.6:
	v_fma_f32 v13, v13, 2.0, -v35
	v_fma_f32 v29, v29, 2.0, -v39
	v_mov_b32_e32 v39, v13
	v_fma_f32 v30, v30, 2.0, -v40
	v_fmac_f32_e32 v39, 0xbec3ef15, v29
	v_fma_f32 v6, v6, 2.0, -v31
	v_fma_f32 v44, v37, 2.0, -v24
	;; [unrolled: 1-line block ×3, first 2 shown]
	v_fmac_f32_e32 v39, 0xbf6c835e, v30
	v_fma_f32 v9, v9, 2.0, -v34
	v_fma_f32 v14, v14, 2.0, -v36
	v_mov_b32_e32 v37, v6
	v_fma_f32 v51, v13, 2.0, -v39
	v_fma_f32 v13, v16, 2.0, -v38
	v_mov_b32_e32 v38, v9
	v_fmac_f32_e32 v37, 0xbf3504f3, v14
	v_fmac_f32_e32 v38, 0xbf3504f3, v13
	;; [unrolled: 1-line block ×4, first 2 shown]
	v_fma_f32 v49, v6, 2.0, -v37
	v_fma_f32 v6, v7, 2.0, -v27
	;; [unrolled: 1-line block ×4, first 2 shown]
	v_mov_b32_e32 v7, v6
	v_fmac_f32_e32 v7, 0xbf6c835e, v9
	v_fma_f32 v10, v10, 2.0, -v32
	v_fmac_f32_e32 v7, 0x3ec3ef15, v10
	v_fma_f32 v3, v3, 2.0, -v15
	v_fma_f32 v13, v6, 2.0, -v7
	v_mov_b32_e32 v6, v3
	v_fmac_f32_e32 v6, 0xbf6c835e, v10
	v_fmac_f32_e32 v6, 0xbec3ef15, v9
	v_fma_f32 v12, v3, 2.0, -v6
	v_fma_f32 v2, v2, 2.0, -v11
	;; [unrolled: 1-line block ×3, first 2 shown]
	v_sub_f32_e32 v5, v2, v3
	v_fma_f32 v46, v11, 2.0, -v18
	v_mov_b32_e32 v40, v25
	v_fma_f32 v11, v2, 2.0, -v5
	v_fma_f32 v1, v1, 2.0, -v8
	;; [unrolled: 1-line block ×3, first 2 shown]
	v_fmac_f32_e32 v40, 0xbec3ef15, v30
	v_sub_f32_e32 v4, v1, v2
	v_fmac_f32_e32 v40, 0x3f6c835e, v29
	v_fma_f32 v10, v1, 2.0, -v4
	v_lshlrev_b32_e32 v1, 7, v0
	v_fma_f32 v43, v35, 2.0, -v23
	v_fma_f32 v42, v34, 2.0, -v22
	;; [unrolled: 1-line block ×7, first 2 shown]
	ds_write_b128 v1, v[10:13]
	ds_write_b128 v1, v[49:52] offset:16
	ds_write_b128 v1, v[45:48] offset:32
	;; [unrolled: 1-line block ×7, first 2 shown]
.LBB0_7:
	s_or_b64 exec, exec, s[4:5]
	v_and_b32_e32 v37, 15, v0
	s_load_dwordx4 s[4:7], s[2:3], 0x0
	v_mad_u64_u32 v[1:2], s[2:3], v37, 24, s[12:13]
	s_waitcnt lgkmcnt(0)
	s_barrier
	global_load_dwordx4 v[13:16], v[1:2], off
	global_load_dwordx2 v[68:69], v[1:2], off offset:16
	ds_read2st64_b64 v[1:4], v76 offset1:8
	ds_read2st64_b64 v[5:8], v76 offset0:16 offset1:24
	ds_read2st64_b64 v[9:12], v76 offset0:32 offset1:48
	;; [unrolled: 1-line block ×4, first 2 shown]
	ds_read_b64 v[33:34], v76 offset:40960
	ds_read_b64 v[35:36], v76 offset:45056
	v_lshlrev_b32_e32 v38, 2, v0
	s_movk_i32 s2, 0x7c0
	v_or_b32_e32 v49, 0x200, v0
	s_waitcnt vmcnt(0) lgkmcnt(0)
	s_barrier
	v_mov_b32_e32 v50, 0
	v_or_b32_e32 v77, 0x7000, v76
	v_mul_f32_e32 v42, v11, v16
	v_mul_f32_e32 v45, v10, v14
	;; [unrolled: 1-line block ×13, first 2 shown]
	v_fmac_f32_e32 v42, v12, v15
	v_fma_f32 v9, v9, v13, -v45
	v_fmac_f32_e32 v46, v10, v13
	v_fma_f32 v10, v31, v15, -v47
	;; [unrolled: 2-line block ×3, first 2 shown]
	v_mul_f32_e32 v53, v30, v14
	v_mul_f32_e32 v55, v26, v16
	;; [unrolled: 1-line block ×3, first 2 shown]
	v_fma_f32 v7, v7, v13, -v39
	v_fmac_f32_e32 v40, v8, v13
	v_fma_f32 v8, v11, v15, -v41
	v_fma_f32 v11, v27, v68, -v43
	v_fmac_f32_e32 v44, v28, v68
	v_fmac_f32_e32 v52, v34, v68
	;; [unrolled: 1-line block ×3, first 2 shown]
	v_sub_f32_e32 v30, v3, v10
	v_sub_f32_e32 v31, v4, v48
	;; [unrolled: 1-line block ×3, first 2 shown]
	v_mul_f32_e32 v56, v25, v16
	v_mul_f32_e32 v57, v36, v69
	v_fma_f32 v27, v29, v13, -v53
	v_fma_f32 v25, v25, v15, -v55
	v_fmac_f32_e32 v58, v36, v68
	v_sub_f32_e32 v8, v1, v8
	v_sub_f32_e32 v28, v2, v42
	;; [unrolled: 1-line block ×5, first 2 shown]
	v_fma_f32 v36, v4, 2.0, -v31
	v_add_f32_e32 v4, v31, v10
	v_fmac_f32_e32 v56, v26, v15
	v_fma_f32 v26, v35, v68, -v57
	v_sub_f32_e32 v39, v5, v25
	v_fma_f32 v25, v1, 2.0, -v8
	v_fma_f32 v32, v2, 2.0, -v28
	;; [unrolled: 1-line block ×4, first 2 shown]
	v_sub_f32_e32 v1, v8, v29
	v_add_f32_e32 v2, v28, v11
	v_fma_f32 v29, v3, 2.0, -v30
	v_fma_f32 v11, v46, 2.0, -v12
	v_sub_f32_e32 v3, v30, v12
	v_fma_f32 v12, v31, 2.0, -v4
	v_sub_f32_e32 v31, v54, v58
	v_sub_f32_e32 v41, v6, v56
	v_fma_f32 v40, v5, 2.0, -v39
	v_sub_f32_e32 v5, v25, v7
	v_fma_f32 v7, v8, 2.0, -v1
	v_fma_f32 v8, v28, 2.0, -v2
	v_sub_f32_e32 v28, v27, v26
	v_fma_f32 v26, v54, 2.0, -v31
	v_sub_f32_e32 v31, v39, v31
	;; [unrolled: 2-line block ×3, first 2 shown]
	v_fma_f32 v33, v25, 2.0, -v5
	v_fma_f32 v25, v27, 2.0, -v28
	;; [unrolled: 1-line block ×3, first 2 shown]
	v_and_or_b32 v39, v38, s2, v37
	v_fma_f32 v34, v32, 2.0, -v6
	v_lshlrev_b32_e32 v83, 3, v39
	ds_write2_b64 v83, v[33:34], v[7:8] offset1:16
	ds_write2_b64 v83, v[5:6], v[1:2] offset0:32 offset1:48
	v_lshlrev_b32_e32 v1, 2, v49
	s_movk_i32 s2, 0xfc0
	v_fma_f32 v9, v9, 2.0, -v10
	v_and_or_b32 v1, v1, s2, v37
	v_sub_f32_e32 v9, v29, v9
	v_lshlrev_b32_e32 v84, 3, v1
	v_or_b32_e32 v1, 0x1000, v38
	s_movk_i32 s2, 0x17c0
	v_sub_f32_e32 v10, v36, v11
	v_fma_f32 v11, v30, 2.0, -v3
	v_fma_f32 v35, v29, 2.0, -v9
	v_sub_f32_e32 v29, v40, v25
	v_sub_f32_e32 v30, v42, v26
	v_add_f32_e32 v32, v41, v28
	v_and_or_b32 v1, v1, s2, v37
	v_fma_f32 v36, v36, 2.0, -v10
	v_fma_f32 v25, v40, 2.0, -v29
	;; [unrolled: 1-line block ×4, first 2 shown]
	v_lshlrev_b32_e32 v85, 3, v1
	ds_write2_b64 v84, v[35:36], v[11:12] offset1:16
	ds_write2_b64 v84, v[9:10], v[3:4] offset0:32 offset1:48
	ds_write2_b64 v85, v[25:26], v[27:28] offset1:16
	ds_write2_b64 v85, v[29:30], v[31:32] offset0:32 offset1:48
	s_waitcnt lgkmcnt(0)
	s_barrier
	ds_read2st64_b64 v[33:36], v76 offset1:12
	ds_read2st64_b64 v[45:48], v76 offset0:24 offset1:36
	ds_read2st64_b64 v[41:44], v76 offset0:48 offset1:60
	;; [unrolled: 1-line block ×3, first 2 shown]
	s_mov_b64 s[2:3], 0x300
	v_cmp_gt_u64_e64 s[2:3], s[2:3], v[49:50]
	s_and_saveexec_b64 s[14:15], s[2:3]
	s_cbranch_execz .LBB0_9
; %bb.8:
	ds_read2st64_b64 v[1:4], v76 offset0:68 offset1:80
	ds_read2st64_b64 v[25:28], v76 offset0:8 offset1:20
	;; [unrolled: 1-line block ×3, first 2 shown]
	ds_read_b64 v[17:18], v77
	ds_read_b64 v[23:24], v76 offset:47104
	s_waitcnt lgkmcnt(4)
	v_mov_b32_e32 v21, v3
	v_mov_b32_e32 v22, v4
	;; [unrolled: 1-line block ×4, first 2 shown]
.LBB0_9:
	s_or_b64 exec, exec, s[14:15]
	v_and_b32_e32 v81, 63, v0
	v_mad_u64_u32 v[50:51], s[14:15], v81, 56, s[12:13]
	s_movk_i32 s14, 0xe00
	v_or_b32_e32 v79, 0x5000, v76
	global_load_dwordx4 v[9:12], v[50:51], off offset:384
	global_load_dwordx4 v[1:4], v[50:51], off offset:400
	;; [unrolled: 1-line block ×3, first 2 shown]
	global_load_dwordx2 v[66:67], v[50:51], off offset:432
	v_or_b32_e32 v78, 0xb000, v76
	s_waitcnt vmcnt(0) lgkmcnt(0)
	s_barrier
	v_mul_f32_e32 v50, v36, v10
	v_mul_f32_e32 v51, v35, v10
	;; [unrolled: 1-line block ×21, first 2 shown]
	v_fma_f32 v35, v35, v9, -v50
	v_fmac_f32_e32 v51, v36, v9
	v_fma_f32 v36, v45, v11, -v52
	v_fma_f32 v45, v47, v1, -v54
	;; [unrolled: 1-line block ×3, first 2 shown]
	v_fmac_f32_e32 v57, v42, v3
	v_fma_f32 v42, v43, v5, -v58
	v_fma_f32 v37, v37, v7, -v60
	v_fmac_f32_e32 v61, v38, v7
	v_fma_f32 v38, v39, v66, -v62
	v_mul_f32_e32 v70, v27, v10
	v_mul_f32_e32 v72, v29, v12
	;; [unrolled: 1-line block ×6, first 2 shown]
	v_fmac_f32_e32 v53, v46, v11
	v_fmac_f32_e32 v55, v48, v1
	;; [unrolled: 1-line block ×4, first 2 shown]
	v_fma_f32 v39, v27, v9, -v64
	v_fma_f32 v40, v29, v11, -v71
	v_fmac_f32_e32 v80, v18, v3
	v_fma_f32 v18, v19, v5, -v82
	v_fmac_f32_e32 v86, v20, v5
	v_fma_f32 v19, v21, v7, -v87
	v_fma_f32 v20, v23, v66, -v89
	v_sub_f32_e32 v21, v33, v41
	v_sub_f32_e32 v23, v36, v37
	;; [unrolled: 1-line block ×4, first 2 shown]
	v_mul_f32_e32 v74, v31, v2
	v_fmac_f32_e32 v70, v28, v9
	v_fmac_f32_e32 v72, v30, v11
	v_fma_f32 v52, v31, v1, -v73
	v_fmac_f32_e32 v88, v22, v7
	v_fmac_f32_e32 v90, v24, v66
	v_sub_f32_e32 v22, v34, v57
	v_sub_f32_e32 v24, v53, v61
	;; [unrolled: 1-line block ×4, first 2 shown]
	v_fma_f32 v31, v33, 2.0, -v21
	v_fma_f32 v33, v36, 2.0, -v23
	;; [unrolled: 1-line block ×4, first 2 shown]
	v_fmac_f32_e32 v74, v32, v1
	v_fma_f32 v32, v34, 2.0, -v22
	v_fma_f32 v34, v53, 2.0, -v24
	;; [unrolled: 1-line block ×4, first 2 shown]
	v_sub_f32_e32 v33, v31, v33
	v_sub_f32_e32 v37, v35, v37
	;; [unrolled: 1-line block ×5, first 2 shown]
	v_fma_f32 v31, v31, 2.0, -v33
	v_fma_f32 v35, v35, 2.0, -v37
	v_sub_f32_e32 v50, v27, v30
	v_add_f32_e32 v23, v22, v23
	v_fma_f32 v21, v21, 2.0, -v24
	v_fma_f32 v32, v32, 2.0, -v34
	;; [unrolled: 1-line block ×3, first 2 shown]
	v_add_f32_e32 v51, v28, v29
	v_fma_f32 v41, v27, 2.0, -v50
	v_sub_f32_e32 v27, v31, v35
	v_fma_f32 v22, v22, 2.0, -v23
	v_fma_f32 v42, v28, 2.0, -v51
	v_sub_f32_e32 v28, v32, v36
	v_fma_f32 v29, v31, 2.0, -v27
	v_mov_b32_e32 v31, v21
	v_fma_f32 v30, v32, 2.0, -v28
	v_fmac_f32_e32 v31, 0xbf3504f3, v41
	v_mov_b32_e32 v32, v22
	v_mov_b32_e32 v48, v23
	v_fma_f32 v17, v17, v3, -v75
	v_fmac_f32_e32 v32, 0xbf3504f3, v42
	v_fmac_f32_e32 v31, 0xbf3504f3, v42
	v_mov_b32_e32 v47, v24
	v_fmac_f32_e32 v48, 0x3f3504f3, v51
	v_fmac_f32_e32 v32, 0x3f3504f3, v41
	v_fma_f32 v41, v21, 2.0, -v31
	v_fmac_f32_e32 v47, 0x3f3504f3, v50
	v_fmac_f32_e32 v48, 0x3f3504f3, v50
	v_sub_f32_e32 v21, v25, v17
	v_sub_f32_e32 v43, v33, v38
	v_fmac_f32_e32 v47, 0xbf3504f3, v51
	v_fma_f32 v51, v23, 2.0, -v48
	v_sub_f32_e32 v23, v26, v80
	v_fma_f32 v17, v25, 2.0, -v21
	v_sub_f32_e32 v25, v72, v88
	v_fma_f32 v42, v22, 2.0, -v32
	v_add_f32_e32 v44, v34, v37
	v_fma_f32 v45, v33, 2.0, -v43
	v_fma_f32 v50, v24, 2.0, -v47
	;; [unrolled: 1-line block ×3, first 2 shown]
	v_sub_f32_e32 v24, v40, v19
	v_fma_f32 v26, v72, 2.0, -v25
	v_sub_f32_e32 v33, v39, v18
	v_sub_f32_e32 v37, v52, v20
	v_fma_f32 v46, v34, 2.0, -v44
	v_fma_f32 v19, v40, 2.0, -v24
	v_sub_f32_e32 v34, v70, v86
	v_fma_f32 v35, v39, 2.0, -v33
	v_sub_f32_e32 v38, v74, v90
	;; [unrolled: 2-line block ×3, first 2 shown]
	v_fma_f32 v36, v70, 2.0, -v34
	v_fma_f32 v40, v74, 2.0, -v38
	v_sub_f32_e32 v18, v17, v19
	v_fma_f32 v19, v22, 2.0, -v20
	v_sub_f32_e32 v22, v21, v25
	v_sub_f32_e32 v25, v35, v39
	v_fma_f32 v17, v17, 2.0, -v18
	v_add_f32_e32 v24, v23, v24
	v_fma_f32 v21, v21, 2.0, -v22
	v_sub_f32_e32 v26, v36, v40
	v_fma_f32 v35, v35, 2.0, -v25
	v_sub_f32_e32 v52, v33, v38
	v_fma_f32 v23, v23, 2.0, -v24
	v_fma_f32 v36, v36, 2.0, -v26
	v_add_f32_e32 v53, v34, v37
	v_fma_f32 v37, v33, 2.0, -v52
	v_sub_f32_e32 v33, v17, v35
	v_mov_b32_e32 v35, v21
	v_fma_f32 v38, v34, 2.0, -v53
	v_sub_f32_e32 v34, v19, v36
	v_fmac_f32_e32 v35, 0xbf3504f3, v37
	v_mov_b32_e32 v36, v23
	v_mov_b32_e32 v39, v22
	;; [unrolled: 1-line block ×3, first 2 shown]
	v_fmac_f32_e32 v36, 0xbf3504f3, v38
	v_fmac_f32_e32 v35, 0xbf3504f3, v38
	v_add_f32_e32 v38, v20, v25
	v_fmac_f32_e32 v39, 0x3f3504f3, v52
	v_fmac_f32_e32 v40, 0x3f3504f3, v53
	v_and_or_b32 v25, v76, s14, v81
	v_fmac_f32_e32 v36, 0x3f3504f3, v37
	v_sub_f32_e32 v37, v18, v26
	v_fmac_f32_e32 v39, 0xbf3504f3, v53
	v_fmac_f32_e32 v40, 0x3f3504f3, v52
	v_lshlrev_b32_e32 v88, 3, v25
	v_lshlrev_b32_e32 v86, 3, v49
	ds_write2st64_b64 v88, v[29:30], v[41:42] offset1:1
	ds_write2st64_b64 v88, v[45:46], v[50:51] offset0:2 offset1:3
	ds_write2st64_b64 v88, v[27:28], v[31:32] offset0:4 offset1:5
	;; [unrolled: 1-line block ×3, first 2 shown]
	s_and_saveexec_b64 s[14:15], s[2:3]
	s_cbranch_execz .LBB0_11
; %bb.10:
	s_movk_i32 s16, 0x1e00
	v_fma_f32 v26, v18, 2.0, -v37
	v_fma_f32 v18, v19, 2.0, -v34
	v_and_or_b32 v19, v86, s16, v81
	v_fma_f32 v25, v24, 2.0, -v40
	v_fma_f32 v24, v22, 2.0, -v39
	;; [unrolled: 1-line block ×5, first 2 shown]
	v_lshlrev_b32_e32 v19, 3, v19
	v_fma_f32 v27, v20, 2.0, -v38
	ds_write2st64_b64 v19, v[17:18], v[21:22] offset1:1
	ds_write2st64_b64 v19, v[26:27], v[24:25] offset0:2 offset1:3
	ds_write2st64_b64 v19, v[33:34], v[35:36] offset0:4 offset1:5
	;; [unrolled: 1-line block ×3, first 2 shown]
.LBB0_11:
	s_or_b64 exec, exec, s[14:15]
	v_lshlrev_b32_e32 v89, 4, v0
	s_waitcnt lgkmcnt(0)
	s_barrier
	global_load_dwordx4 v[17:20], v89, s[12:13] offset:3968
	ds_read2st64_b64 v[21:24], v76 offset1:8
	ds_read2st64_b64 v[25:28], v76 offset0:32 offset1:48
	ds_read2st64_b64 v[29:32], v76 offset0:64 offset1:72
	;; [unrolled: 1-line block ×3, first 2 shown]
	ds_read_b64 v[45:46], v76 offset:40960
	ds_read_b64 v[47:48], v78
	ds_read_b64 v[49:50], v79
	ds_read_b64 v[51:52], v77
	v_mov_b32_e32 v53, s13
	v_add_co_u32_e32 v54, vcc, s12, v89
	v_addc_co_u32_e32 v53, vcc, 0, v53, vcc
	s_waitcnt vmcnt(0) lgkmcnt(0)
	s_barrier
	s_movk_i32 s18, 0x2000
	s_movk_i32 s12, 0x2f80
	s_movk_i32 s17, 0x5000
	s_mov_b32 s16, 0x8000
	v_or_b32_e32 v80, 0x600, v0
	v_or_b32_e32 v82, 0xc00, v0
	;; [unrolled: 1-line block ×3, first 2 shown]
	v_lshlrev_b32_e32 v82, 3, v82
	v_mul_f32_e32 v55, v26, v18
	v_mul_f32_e32 v56, v25, v18
	;; [unrolled: 1-line block ×5, first 2 shown]
	v_fma_f32 v25, v25, v17, -v55
	v_fmac_f32_e32 v56, v26, v17
	v_fma_f32 v26, v29, v19, -v57
	v_mul_f32_e32 v59, v50, v18
	v_mul_f32_e32 v60, v49, v18
	;; [unrolled: 1-line block ×4, first 2 shown]
	v_fmac_f32_e32 v58, v30, v19
	v_fmac_f32_e32 v64, v28, v17
	v_add_f32_e32 v28, v25, v26
	v_mul_f32_e32 v61, v32, v20
	v_mul_f32_e32 v62, v31, v20
	;; [unrolled: 1-line block ×3, first 2 shown]
	v_fma_f32 v29, v49, v17, -v59
	v_fmac_f32_e32 v60, v50, v17
	v_fma_f32 v49, v27, v17, -v63
	v_fma_f32 v50, v45, v19, -v70
	v_add_f32_e32 v27, v21, v25
	v_add_f32_e32 v45, v56, v58
	v_fma_f32 v21, -0.5, v28, v21
	v_fma_f32 v30, v31, v19, -v61
	v_fmac_f32_e32 v62, v32, v19
	v_fmac_f32_e32 v71, v46, v19
	v_sub_f32_e32 v32, v56, v58
	v_add_f32_e32 v31, v22, v56
	v_fma_f32 v22, -0.5, v45, v22
	v_mov_b32_e32 v45, v21
	v_mul_f32_e32 v72, v52, v18
	v_mul_f32_e32 v73, v51, v18
	;; [unrolled: 1-line block ×3, first 2 shown]
	v_fmac_f32_e32 v21, 0xbf5db3d7, v32
	v_fmac_f32_e32 v45, 0x3f5db3d7, v32
	v_add_f32_e32 v32, v64, v71
	v_mul_f32_e32 v75, v47, v20
	v_fma_f32 v55, v51, v17, -v72
	v_fmac_f32_e32 v73, v52, v17
	v_fma_f32 v52, v47, v19, -v74
	v_add_f32_e32 v46, v23, v29
	v_add_f32_e32 v47, v29, v30
	v_sub_f32_e32 v59, v29, v30
	v_add_f32_e32 v29, v41, v49
	v_fma_f32 v32, -0.5, v32, v42
	v_fmac_f32_e32 v75, v48, v19
	v_sub_f32_e32 v51, v25, v26
	v_sub_f32_e32 v56, v60, v62
	v_add_f32_e32 v48, v24, v60
	v_add_f32_e32 v57, v60, v62
	;; [unrolled: 1-line block ×5, first 2 shown]
	v_fma_f32 v23, -0.5, v47, v23
	v_add_f32_e32 v29, v29, v50
	v_add_f32_e32 v30, v42, v64
	v_sub_f32_e32 v49, v49, v50
	v_mov_b32_e32 v42, v32
	v_add_f32_e32 v50, v55, v52
	v_mov_b32_e32 v46, v22
	v_mov_b32_e32 v47, v23
	v_fmac_f32_e32 v42, 0xbf5db3d7, v49
	v_fmac_f32_e32 v32, 0x3f5db3d7, v49
	v_add_f32_e32 v49, v43, v55
	v_fma_f32 v43, -0.5, v50, v43
	v_add_f32_e32 v26, v31, v58
	v_fma_f32 v31, -0.5, v60, v41
	v_fmac_f32_e32 v22, 0x3f5db3d7, v51
	v_fmac_f32_e32 v23, 0xbf5db3d7, v56
	;; [unrolled: 1-line block ×4, first 2 shown]
	v_sub_f32_e32 v50, v73, v75
	v_mov_b32_e32 v51, v43
	v_add_f32_e32 v56, v73, v75
	v_sub_f32_e32 v61, v64, v71
	v_fmac_f32_e32 v24, -0.5, v57
	v_mov_b32_e32 v41, v31
	v_fmac_f32_e32 v51, 0x3f5db3d7, v50
	v_fmac_f32_e32 v43, 0xbf5db3d7, v50
	v_add_f32_e32 v50, v44, v73
	v_fmac_f32_e32 v44, -0.5, v56
	v_add_f32_e32 v28, v48, v62
	v_mov_b32_e32 v48, v24
	v_fmac_f32_e32 v41, 0x3f5db3d7, v61
	v_add_f32_e32 v49, v49, v52
	v_sub_f32_e32 v55, v55, v52
	v_mov_b32_e32 v52, v44
	v_fmac_f32_e32 v24, 0x3f5db3d7, v59
	v_fmac_f32_e32 v48, 0xbf5db3d7, v59
	;; [unrolled: 1-line block ×3, first 2 shown]
	v_add_f32_e32 v30, v30, v71
	v_add_f32_e32 v50, v50, v75
	v_fmac_f32_e32 v52, 0xbf5db3d7, v55
	v_fmac_f32_e32 v44, 0x3f5db3d7, v55
	ds_write2st64_b64 v76, v[25:26], v[45:46] offset1:8
	ds_write2st64_b64 v76, v[21:22], v[27:28] offset0:16 offset1:24
	ds_write_b64 v79, v[23:24]
	ds_write2st64_b64 v76, v[47:48], v[29:30] offset0:32 offset1:48
	ds_write_b64 v77, v[41:42]
	ds_write2st64_b64 v76, v[31:32], v[49:50] offset0:64 offset1:72
	ds_write_b64 v76, v[51:52] offset:40960
	ds_write_b64 v78, v[43:44]
	v_add_co_u32_e32 v41, vcc, v54, v76
	v_addc_co_u32_e32 v42, vcc, 0, v53, vcc
	v_add_co_u32_e32 v21, vcc, s18, v41
	v_addc_co_u32_e32 v22, vcc, 0, v42, vcc
	s_waitcnt lgkmcnt(0)
	s_barrier
	global_load_dwordx4 v[21:24], v[21:22], off offset:3968
	v_add_co_u32_e32 v25, vcc, s12, v41
	v_addc_co_u32_e32 v26, vcc, 0, v42, vcc
	global_load_dwordx2 v[70:71], v[25:26], off offset:16
	v_add_co_u32_e32 v25, vcc, s17, v41
	v_addc_co_u32_e32 v26, vcc, 0, v42, vcc
	s_movk_i32 s12, 0x5f80
	v_add_co_u32_e32 v29, vcc, s12, v41
	global_load_dwordx4 v[25:28], v[25:26], off offset:3968
	v_addc_co_u32_e32 v30, vcc, 0, v42, vcc
	global_load_dwordx2 v[72:73], v[29:30], off offset:16
	v_add_co_u32_e32 v29, vcc, s16, v41
	v_addc_co_u32_e32 v30, vcc, 0, v42, vcc
	s_mov_b32 s12, 0x8f80
	global_load_dwordx4 v[29:32], v[29:30], off offset:3968
	v_add_co_u32_e32 v41, vcc, s12, v41
	v_addc_co_u32_e32 v42, vcc, 0, v42, vcc
	global_load_dwordx2 v[74:75], v[41:42], off offset:16
	ds_read2st64_b64 v[47:50], v76 offset1:8
	ds_read2st64_b64 v[57:60], v76 offset0:16 offset1:24
	ds_read2st64_b64 v[41:44], v76 offset0:32 offset1:48
	;; [unrolled: 1-line block ×3, first 2 shown]
	ds_read_b64 v[45:46], v76 offset:40960
	ds_read_b64 v[55:56], v77
	ds_read_b64 v[61:62], v79
	ds_read_b64 v[63:64], v78
	s_waitcnt vmcnt(5) lgkmcnt(6)
	v_mul_f32_e32 v87, v60, v22
	v_fma_f32 v87, v59, v21, -v87
	v_mul_f32_e32 v59, v59, v22
	v_fmac_f32_e32 v59, v60, v21
	s_waitcnt lgkmcnt(5)
	v_mul_f32_e32 v60, v44, v24
	v_fma_f32 v60, v43, v23, -v60
	v_mul_f32_e32 v43, v43, v24
	v_fmac_f32_e32 v43, v44, v23
	s_waitcnt vmcnt(4) lgkmcnt(4)
	v_mul_f32_e32 v44, v54, v71
	v_fma_f32 v44, v53, v70, -v44
	v_mul_f32_e32 v53, v53, v71
	v_fmac_f32_e32 v53, v54, v70
	v_sub_f32_e32 v44, v87, v44
	s_waitcnt vmcnt(3)
	v_mul_f32_e32 v54, v42, v26
	v_fma_f32 v54, v41, v25, -v54
	v_mul_f32_e32 v91, v41, v26
	s_waitcnt lgkmcnt(2)
	v_mul_f32_e32 v41, v56, v28
	v_fma_f32 v92, v55, v27, -v41
	v_mul_f32_e32 v55, v55, v28
	s_waitcnt vmcnt(2)
	v_mul_f32_e32 v41, v46, v73
	v_fmac_f32_e32 v55, v56, v27
	v_fma_f32 v56, v45, v72, -v41
	s_waitcnt vmcnt(1) lgkmcnt(1)
	v_mul_f32_e32 v41, v62, v30
	v_fma_f32 v94, v61, v29, -v41
	v_mul_f32_e32 v61, v61, v30
	v_mul_f32_e32 v41, v52, v32
	v_fmac_f32_e32 v61, v62, v29
	v_fma_f32 v62, v51, v31, -v41
	v_mul_f32_e32 v95, v51, v32
	s_waitcnt vmcnt(0) lgkmcnt(0)
	v_mul_f32_e32 v41, v64, v75
	v_sub_f32_e32 v51, v47, v60
	v_mul_f32_e32 v93, v45, v73
	v_fmac_f32_e32 v95, v52, v31
	v_fma_f32 v96, v63, v74, -v41
	v_sub_f32_e32 v52, v48, v43
	v_fma_f32 v43, v47, 2.0, -v51
	v_fma_f32 v41, v87, 2.0, -v44
	v_fmac_f32_e32 v91, v42, v25
	v_fmac_f32_e32 v93, v46, v72
	v_sub_f32_e32 v47, v59, v53
	v_sub_f32_e32 v41, v43, v41
	v_fma_f32 v42, v59, 2.0, -v47
	v_fma_f32 v45, v43, 2.0, -v41
	v_sub_f32_e32 v43, v51, v47
	v_add_f32_e32 v44, v52, v44
	v_sub_f32_e32 v59, v49, v92
	v_sub_f32_e32 v60, v50, v55
	;; [unrolled: 1-line block ×4, first 2 shown]
	v_mul_f32_e32 v63, v63, v75
	v_fma_f32 v46, v48, 2.0, -v52
	v_fma_f32 v47, v51, 2.0, -v43
	;; [unrolled: 1-line block ×7, first 2 shown]
	v_fmac_f32_e32 v63, v64, v74
	v_sub_f32_e32 v49, v51, v49
	v_sub_f32_e32 v50, v52, v50
	v_fma_f32 v53, v51, 2.0, -v49
	v_fma_f32 v54, v52, 2.0, -v50
	v_sub_f32_e32 v51, v59, v56
	v_add_f32_e32 v52, v60, v55
	v_sub_f32_e32 v64, v57, v62
	v_sub_f32_e32 v87, v58, v95
	;; [unrolled: 1-line block ×4, first 2 shown]
	v_fma_f32 v55, v59, 2.0, -v51
	v_fma_f32 v56, v60, 2.0, -v52
	;; [unrolled: 1-line block ×6, first 2 shown]
	v_sub_f32_e32 v57, v59, v57
	v_sub_f32_e32 v58, v60, v58
	;; [unrolled: 1-line block ×3, first 2 shown]
	v_fma_f32 v61, v59, 2.0, -v57
	v_fma_f32 v62, v60, 2.0, -v58
	v_sub_f32_e32 v59, v64, v63
	v_add_f32_e32 v60, v87, v91
	v_fma_f32 v46, v46, 2.0, -v42
	v_fma_f32 v63, v64, 2.0, -v59
	;; [unrolled: 1-line block ×3, first 2 shown]
	v_lshlrev_b32_e32 v87, 3, v80
	v_lshlrev_b32_e32 v80, 3, v90
	ds_write2st64_b64 v76, v[45:46], v[53:54] offset1:8
	ds_write2st64_b64 v76, v[55:56], v[41:42] offset0:32 offset1:48
	ds_write_b64 v77, v[49:50]
	ds_write_b64 v76, v[51:52] offset:40960
	ds_write2st64_b64 v76, v[61:62], v[47:48] offset0:16 offset1:24
	ds_write_b64 v79, v[63:64]
	ds_write2st64_b64 v76, v[57:58], v[43:44] offset0:64 offset1:72
	ds_write_b64 v78, v[59:60]
	s_waitcnt lgkmcnt(0)
	s_barrier
	s_and_saveexec_b64 s[12:13], s[0:1]
	s_cbranch_execz .LBB0_13
; %bb.12:
	s_add_u32 s14, s8, 0xc000
	s_addc_u32 s15, s9, 0
	global_load_dwordx2 v[96:97], v76, s[14:15]
	ds_read2st64_b64 v[92:95], v76 offset1:6
	v_add_co_u32_e32 v90, vcc, s14, v76
	v_mov_b32_e32 v91, s15
	v_addc_co_u32_e32 v91, vcc, 0, v91, vcc
	s_movk_i32 s19, 0x1000
	s_waitcnt vmcnt(0) lgkmcnt(0)
	v_mul_f32_e32 v98, v93, v97
	v_mul_f32_e32 v99, v92, v97
	v_fma_f32 v98, v92, v96, -v98
	v_fmac_f32_e32 v99, v93, v96
	global_load_dwordx2 v[92:93], v76, s[14:15] offset:3072
	s_waitcnt vmcnt(0)
	v_mul_f32_e32 v96, v95, v93
	v_mul_f32_e32 v97, v94, v93
	v_fma_f32 v96, v94, v92, -v96
	v_fmac_f32_e32 v97, v95, v92
	ds_write2st64_b64 v76, v[98:99], v[96:97] offset1:6
	v_add_co_u32_e32 v96, vcc, s19, v90
	v_addc_co_u32_e32 v97, vcc, 0, v91, vcc
	global_load_dwordx2 v[96:97], v[96:97], off offset:2048
	ds_read2st64_b64 v[92:95], v76 offset0:12 offset1:18
	s_waitcnt vmcnt(0) lgkmcnt(0)
	v_mul_f32_e32 v98, v93, v97
	v_fma_f32 v98, v92, v96, -v98
	v_mul_f32_e32 v99, v92, v97
	v_add_co_u32_e32 v92, vcc, s18, v90
	v_fmac_f32_e32 v99, v93, v96
	v_addc_co_u32_e32 v93, vcc, 0, v91, vcc
	global_load_dwordx2 v[92:93], v[92:93], off offset:1024
	s_movk_i32 s18, 0x3000
	s_waitcnt vmcnt(0)
	v_mul_f32_e32 v96, v95, v93
	v_mul_f32_e32 v97, v94, v93
	v_fma_f32 v96, v94, v92, -v96
	v_fmac_f32_e32 v97, v95, v92
	ds_write2st64_b64 v76, v[98:99], v[96:97] offset0:12 offset1:18
	global_load_dwordx2 v[96:97], v87, s[14:15]
	ds_read2st64_b64 v[92:95], v76 offset0:24 offset1:30
	s_waitcnt vmcnt(0) lgkmcnt(0)
	v_mul_f32_e32 v98, v93, v97
	v_fma_f32 v98, v92, v96, -v98
	v_mul_f32_e32 v99, v92, v97
	v_add_co_u32_e32 v92, vcc, s18, v90
	v_fmac_f32_e32 v99, v93, v96
	v_addc_co_u32_e32 v93, vcc, 0, v91, vcc
	global_load_dwordx2 v[92:93], v[92:93], off offset:3072
	s_movk_i32 s18, 0x4000
	s_waitcnt vmcnt(0)
	v_mul_f32_e32 v96, v95, v93
	v_mul_f32_e32 v97, v94, v93
	v_fma_f32 v96, v94, v92, -v96
	v_fmac_f32_e32 v97, v95, v92
	ds_write2st64_b64 v76, v[98:99], v[96:97] offset0:24 offset1:30
	v_add_co_u32_e32 v96, vcc, s18, v90
	v_addc_co_u32_e32 v97, vcc, 0, v91, vcc
	global_load_dwordx2 v[96:97], v[96:97], off offset:2048
	ds_read2st64_b64 v[92:95], v76 offset0:36 offset1:42
	s_waitcnt vmcnt(0) lgkmcnt(0)
	v_mul_f32_e32 v98, v93, v97
	v_fma_f32 v98, v92, v96, -v98
	v_mul_f32_e32 v99, v92, v97
	v_add_co_u32_e32 v92, vcc, s17, v90
	v_fmac_f32_e32 v99, v93, v96
	v_addc_co_u32_e32 v93, vcc, 0, v91, vcc
	global_load_dwordx2 v[92:93], v[92:93], off offset:1024
	s_movk_i32 s17, 0x6000
	s_waitcnt vmcnt(0)
	v_mul_f32_e32 v96, v95, v93
	v_mul_f32_e32 v97, v94, v93
	v_fma_f32 v96, v94, v92, -v96
	v_fmac_f32_e32 v97, v95, v92
	ds_write2st64_b64 v76, v[98:99], v[96:97] offset0:36 offset1:42
	global_load_dwordx2 v[96:97], v82, s[14:15]
	ds_read2st64_b64 v[92:95], v76 offset0:48 offset1:54
	s_waitcnt vmcnt(0) lgkmcnt(0)
	v_mul_f32_e32 v98, v93, v97
	v_fma_f32 v98, v92, v96, -v98
	v_mul_f32_e32 v99, v92, v97
	v_add_co_u32_e32 v92, vcc, s17, v90
	v_fmac_f32_e32 v99, v93, v96
	v_addc_co_u32_e32 v93, vcc, 0, v91, vcc
	global_load_dwordx2 v[92:93], v[92:93], off offset:3072
	s_movk_i32 s17, 0x7000
	s_waitcnt vmcnt(0)
	v_mul_f32_e32 v96, v95, v93
	v_mul_f32_e32 v97, v94, v93
	v_fma_f32 v96, v94, v92, -v96
	v_fmac_f32_e32 v97, v95, v92
	ds_write2st64_b64 v76, v[98:99], v[96:97] offset0:48 offset1:54
	v_add_co_u32_e32 v96, vcc, s17, v90
	v_addc_co_u32_e32 v97, vcc, 0, v91, vcc
	global_load_dwordx2 v[96:97], v[96:97], off offset:2048
	ds_read2st64_b64 v[92:95], v76 offset0:60 offset1:66
	s_waitcnt vmcnt(0) lgkmcnt(0)
	v_mul_f32_e32 v98, v93, v97
	v_fma_f32 v98, v92, v96, -v98
	v_mul_f32_e32 v99, v92, v97
	v_add_co_u32_e32 v92, vcc, s16, v90
	v_fmac_f32_e32 v99, v93, v96
	v_addc_co_u32_e32 v93, vcc, 0, v91, vcc
	global_load_dwordx2 v[92:93], v[92:93], off offset:1024
	s_waitcnt vmcnt(0)
	v_mul_f32_e32 v96, v95, v93
	v_mul_f32_e32 v97, v94, v93
	v_fma_f32 v96, v94, v92, -v96
	v_fmac_f32_e32 v97, v95, v92
	ds_write2st64_b64 v76, v[98:99], v[96:97] offset0:60 offset1:66
	global_load_dwordx2 v[96:97], v80, s[14:15]
	ds_read2st64_b64 v[92:95], v76 offset0:72 offset1:78
	s_mov_b32 s14, 0x9000
	s_waitcnt vmcnt(0) lgkmcnt(0)
	v_mul_f32_e32 v98, v93, v97
	v_fma_f32 v98, v92, v96, -v98
	v_mul_f32_e32 v99, v92, v97
	v_add_co_u32_e32 v92, vcc, s14, v90
	v_fmac_f32_e32 v99, v93, v96
	v_addc_co_u32_e32 v93, vcc, 0, v91, vcc
	global_load_dwordx2 v[92:93], v[92:93], off offset:3072
	s_mov_b32 s14, 0xa000
	s_waitcnt vmcnt(0)
	v_mul_f32_e32 v96, v95, v93
	v_mul_f32_e32 v97, v94, v93
	v_fma_f32 v96, v94, v92, -v96
	v_fmac_f32_e32 v97, v95, v92
	ds_write2st64_b64 v76, v[98:99], v[96:97] offset0:72 offset1:78
	v_add_co_u32_e32 v96, vcc, s14, v90
	v_addc_co_u32_e32 v97, vcc, 0, v91, vcc
	v_add_co_u32_e32 v90, vcc, 0xb000, v90
	global_load_dwordx2 v[96:97], v[96:97], off offset:2048
	v_addc_co_u32_e32 v91, vcc, 0, v91, vcc
	global_load_dwordx2 v[90:91], v[90:91], off offset:1024
	ds_read2st64_b64 v[92:95], v76 offset0:84 offset1:90
	s_waitcnt vmcnt(1) lgkmcnt(0)
	v_mul_f32_e32 v98, v93, v97
	v_mul_f32_e32 v99, v92, v97
	v_fma_f32 v98, v92, v96, -v98
	v_fmac_f32_e32 v99, v93, v96
	s_waitcnt vmcnt(0)
	v_mul_f32_e32 v92, v95, v91
	v_mul_f32_e32 v93, v94, v91
	v_fma_f32 v92, v94, v90, -v92
	v_fmac_f32_e32 v93, v95, v90
	ds_write2st64_b64 v76, v[98:99], v[92:93] offset0:84 offset1:90
.LBB0_13:
	s_or_b64 exec, exec, s[12:13]
	s_waitcnt lgkmcnt(0)
	s_barrier
	s_and_saveexec_b64 s[12:13], s[0:1]
	s_cbranch_execz .LBB0_15
; %bb.14:
	ds_read2st64_b64 v[45:48], v76 offset1:6
	ds_read2st64_b64 v[41:44], v76 offset0:12 offset1:18
	ds_read2st64_b64 v[53:56], v76 offset0:24 offset1:30
	;; [unrolled: 1-line block ×7, first 2 shown]
.LBB0_15:
	s_or_b64 exec, exec, s[12:13]
	s_waitcnt lgkmcnt(3)
	v_sub_f32_e32 v62, v46, v62
	s_waitcnt lgkmcnt(1)
	v_sub_f32_e32 v33, v53, v33
	v_sub_f32_e32 v34, v54, v34
	;; [unrolled: 1-line block ×3, first 2 shown]
	v_fma_f32 v90, v46, 2.0, -v62
	v_fma_f32 v46, v53, 2.0, -v33
	;; [unrolled: 1-line block ×3, first 2 shown]
	v_sub_f32_e32 v54, v41, v57
	v_sub_f32_e32 v58, v42, v58
	s_waitcnt lgkmcnt(0)
	v_sub_f32_e32 v37, v49, v37
	v_sub_f32_e32 v38, v50, v38
	v_fma_f32 v91, v41, 2.0, -v54
	v_fma_f32 v92, v42, 2.0, -v58
	;; [unrolled: 1-line block ×4, first 2 shown]
	v_sub_f32_e32 v63, v47, v63
	v_sub_f32_e32 v35, v55, v35
	;; [unrolled: 1-line block ×5, first 2 shown]
	v_add_f32_e32 v53, v34, v61
	v_sub_f32_e32 v64, v48, v64
	v_fma_f32 v94, v47, 2.0, -v63
	v_sub_f32_e32 v36, v56, v36
	v_fma_f32 v55, v55, 2.0, -v35
	v_fma_f32 v95, v43, 2.0, -v59
	v_sub_f32_e32 v40, v52, v40
	v_fma_f32 v51, v51, 2.0, -v39
	v_sub_f32_e32 v57, v62, v33
	;; [unrolled: 2-line block ×3, first 2 shown]
	v_sub_f32_e32 v34, v92, v50
	v_add_f32_e32 v38, v38, v54
	v_fma_f32 v45, v45, 2.0, -v61
	v_sub_f32_e32 v60, v44, v60
	v_fma_f32 v97, v52, 2.0, -v40
	v_fma_f32 v42, v90, 2.0, -v49
	;; [unrolled: 1-line block ×5, first 2 shown]
	v_sub_f32_e32 v37, v58, v37
	v_fma_f32 v92, v54, 2.0, -v38
	v_sub_f32_e32 v54, v94, v55
	v_add_f32_e32 v61, v36, v63
	v_sub_f32_e32 v62, v64, v35
	v_sub_f32_e32 v35, v95, v51
	v_add_f32_e32 v40, v40, v59
	v_mov_b32_e32 v55, v43
	v_fma_f32 v48, v48, 2.0, -v64
	v_fma_f32 v56, v56, 2.0, -v36
	;; [unrolled: 1-line block ×3, first 2 shown]
	v_sub_f32_e32 v46, v45, v46
	v_fma_f32 v58, v58, 2.0, -v37
	v_fma_f32 v44, v94, 2.0, -v54
	;; [unrolled: 1-line block ×6, first 2 shown]
	v_fmac_f32_e32 v55, 0xbf3504f3, v92
	v_mov_b32_e32 v59, v47
	v_fma_f32 v41, v45, 2.0, -v46
	v_sub_f32_e32 v56, v48, v56
	v_sub_f32_e32 v36, v96, v97
	;; [unrolled: 1-line block ×3, first 2 shown]
	v_fmac_f32_e32 v59, 0xbf3504f3, v58
	v_fmac_f32_e32 v55, 0x3f3504f3, v58
	v_sub_f32_e32 v58, v44, v64
	v_mov_b32_e32 v64, v50
	v_fma_f32 v45, v48, 2.0, -v56
	v_fma_f32 v93, v96, 2.0, -v36
	v_fma_f32 v96, v60, 2.0, -v39
	v_sub_f32_e32 v48, v41, v90
	v_fmac_f32_e32 v59, 0xbf3504f3, v92
	v_mov_b32_e32 v92, v53
	v_mov_b32_e32 v94, v57
	v_fmac_f32_e32 v64, 0xbf3504f3, v95
	v_mov_b32_e32 v90, v52
	v_fmac_f32_e32 v92, 0x3f3504f3, v38
	v_fmac_f32_e32 v94, 0x3f3504f3, v37
	;; [unrolled: 1-line block ×4, first 2 shown]
	v_mov_b32_e32 v96, v61
	v_mov_b32_e32 v97, v62
	v_sub_f32_e32 v51, v42, v91
	v_add_f32_e32 v63, v34, v46
	v_sub_f32_e32 v91, v49, v33
	v_fmac_f32_e32 v92, 0x3f3504f3, v37
	v_fmac_f32_e32 v94, 0xbf3504f3, v38
	;; [unrolled: 1-line block ×4, first 2 shown]
	v_sub_f32_e32 v60, v45, v93
	v_fmac_f32_e32 v90, 0xbf3504f3, v95
	v_add_f32_e32 v93, v36, v54
	v_sub_f32_e32 v95, v56, v35
	v_fmac_f32_e32 v96, 0x3f3504f3, v39
	v_fmac_f32_e32 v97, 0xbf3504f3, v40
	v_mov_b32_e32 v35, v55
	v_mov_b32_e32 v36, v59
	;; [unrolled: 1-line block ×6, first 2 shown]
	v_fmac_f32_e32 v35, 0x3ec3ef15, v64
	v_fmac_f32_e32 v36, 0x3ec3ef15, v90
	;; [unrolled: 1-line block ×6, first 2 shown]
	v_add_f32_e32 v33, v60, v48
	v_sub_f32_e32 v34, v51, v58
	v_fmac_f32_e32 v35, 0x3f6c835e, v90
	v_fmac_f32_e32 v36, 0xbf6c835e, v64
	;; [unrolled: 1-line block ×6, first 2 shown]
	s_barrier
	s_and_saveexec_b64 s[12:13], s[0:1]
	s_cbranch_execz .LBB0_17
; %bb.16:
	v_fma_f32 v53, v53, 2.0, -v92
	v_fma_f32 v61, v61, 2.0, -v96
	v_mov_b32_e32 v96, v53
	v_fma_f32 v62, v62, 2.0, -v97
	v_fmac_f32_e32 v96, 0xbec3ef15, v61
	v_fma_f32 v46, v46, 2.0, -v63
	v_fma_f32 v101, v94, 2.0, -v40
	v_fma_f32 v57, v57, 2.0, -v94
	v_fmac_f32_e32 v96, 0x3f6c835e, v62
	v_fma_f32 v49, v49, 2.0, -v91
	v_fma_f32 v54, v54, 2.0, -v93
	v_mov_b32_e32 v94, v46
	v_fma_f32 v108, v53, 2.0, -v96
	v_fma_f32 v53, v56, 2.0, -v95
	v_mov_b32_e32 v95, v49
	v_fmac_f32_e32 v94, 0xbf3504f3, v54
	v_fmac_f32_e32 v95, 0xbf3504f3, v53
	;; [unrolled: 1-line block ×4, first 2 shown]
	v_fma_f32 v106, v46, 2.0, -v94
	v_fma_f32 v46, v47, 2.0, -v59
	;; [unrolled: 1-line block ×4, first 2 shown]
	v_mov_b32_e32 v47, v46
	v_fmac_f32_e32 v47, 0xbf6c835e, v49
	v_fma_f32 v50, v50, 2.0, -v64
	v_fmac_f32_e32 v47, 0xbec3ef15, v50
	v_fma_f32 v43, v43, 2.0, -v55
	v_fma_f32 v53, v46, 2.0, -v47
	v_mov_b32_e32 v46, v43
	v_fmac_f32_e32 v46, 0xbf6c835e, v50
	v_fmac_f32_e32 v46, 0x3ec3ef15, v49
	v_fma_f32 v52, v43, 2.0, -v46
	v_fma_f32 v42, v42, 2.0, -v51
	;; [unrolled: 1-line block ×3, first 2 shown]
	v_sub_f32_e32 v45, v42, v43
	v_fma_f32 v103, v51, 2.0, -v34
	v_mov_b32_e32 v97, v57
	v_fma_f32 v51, v42, 2.0, -v45
	v_fma_f32 v41, v41, 2.0, -v48
	;; [unrolled: 1-line block ×3, first 2 shown]
	v_fmac_f32_e32 v97, 0xbec3ef15, v62
	v_sub_f32_e32 v44, v41, v42
	v_fmac_f32_e32 v97, 0xbf6c835e, v61
	v_fma_f32 v50, v41, 2.0, -v44
	v_lshlrev_b32_e32 v41, 3, v89
	v_fma_f32 v100, v92, 2.0, -v39
	v_fma_f32 v99, v91, 2.0, -v38
	;; [unrolled: 1-line block ×7, first 2 shown]
	ds_write_b128 v41, v[50:53]
	ds_write_b128 v41, v[106:109] offset:16
	ds_write_b128 v41, v[102:105] offset:32
	;; [unrolled: 1-line block ×7, first 2 shown]
.LBB0_17:
	s_or_b64 exec, exec, s[12:13]
	s_waitcnt lgkmcnt(0)
	s_barrier
	ds_read2st64_b64 v[41:44], v76 offset1:8
	ds_read2st64_b64 v[45:48], v76 offset0:16 offset1:24
	ds_read2st64_b64 v[49:52], v76 offset0:32 offset1:48
	;; [unrolled: 1-line block ×3, first 2 shown]
	ds_read_b64 v[57:58], v77
	ds_read_b64 v[59:60], v79
	ds_read_b64 v[61:62], v76 offset:40960
	ds_read_b64 v[63:64], v78
	s_waitcnt lgkmcnt(6)
	v_mul_f32_e32 v89, v14, v48
	v_fmac_f32_e32 v89, v13, v47
	v_mul_f32_e32 v47, v14, v47
	v_fma_f32 v47, v13, v48, -v47
	s_waitcnt lgkmcnt(5)
	v_mul_f32_e32 v48, v16, v52
	v_fmac_f32_e32 v48, v15, v51
	v_mul_f32_e32 v51, v16, v51
	v_fma_f32 v51, v15, v52, -v51
	;; [unrolled: 5-line block ×3, first 2 shown]
	v_mul_f32_e32 v56, v14, v50
	v_fmac_f32_e32 v56, v13, v49
	v_mul_f32_e32 v49, v14, v49
	s_waitcnt lgkmcnt(2)
	v_mul_f32_e32 v92, v14, v60
	v_mul_f32_e32 v14, v14, v59
	v_fma_f32 v90, v13, v50, -v49
	v_mul_f32_e32 v91, v16, v58
	v_mul_f32_e32 v49, v16, v57
	v_fmac_f32_e32 v92, v13, v59
	v_fma_f32 v13, v13, v60, -v14
	v_mul_f32_e32 v14, v16, v54
	v_fmac_f32_e32 v91, v15, v57
	v_fma_f32 v57, v15, v58, -v49
	s_waitcnt lgkmcnt(1)
	v_mul_f32_e32 v58, v69, v62
	v_mul_f32_e32 v49, v69, v61
	v_fmac_f32_e32 v14, v15, v53
	v_mul_f32_e32 v16, v16, v53
	v_sub_f32_e32 v53, v41, v48
	v_sub_f32_e32 v52, v89, v52
	v_fmac_f32_e32 v58, v68, v61
	v_fma_f32 v61, v68, v62, -v49
	v_fma_f32 v15, v15, v54, -v16
	s_waitcnt lgkmcnt(0)
	v_mul_f32_e32 v16, v69, v64
	v_mul_f32_e32 v49, v69, v63
	v_sub_f32_e32 v54, v42, v51
	v_fma_f32 v41, v41, 2.0, -v53
	v_sub_f32_e32 v51, v47, v55
	v_fma_f32 v48, v89, 2.0, -v52
	v_fmac_f32_e32 v16, v68, v63
	v_fma_f32 v63, v68, v64, -v49
	v_fma_f32 v42, v42, 2.0, -v54
	v_fma_f32 v49, v47, 2.0, -v51
	v_sub_f32_e32 v47, v41, v48
	v_sub_f32_e32 v48, v42, v49
	v_fma_f32 v49, v41, 2.0, -v47
	v_sub_f32_e32 v41, v43, v91
	v_sub_f32_e32 v60, v56, v58
	v_fma_f32 v43, v43, 2.0, -v41
	v_fma_f32 v55, v56, 2.0, -v60
	;; [unrolled: 1-line block ×3, first 2 shown]
	v_sub_f32_e32 v42, v44, v57
	v_sub_f32_e32 v59, v90, v61
	;; [unrolled: 1-line block ×3, first 2 shown]
	v_fma_f32 v44, v44, 2.0, -v42
	v_fma_f32 v56, v90, 2.0, -v59
	v_fma_f32 v57, v43, 2.0, -v55
	v_add_f32_e32 v59, v41, v59
	v_sub_f32_e32 v64, v45, v14
	v_sub_f32_e32 v68, v46, v15
	;; [unrolled: 1-line block ×4, first 2 shown]
	v_add_f32_e32 v51, v53, v51
	v_sub_f32_e32 v52, v54, v52
	v_sub_f32_e32 v56, v44, v56
	;; [unrolled: 1-line block ×3, first 2 shown]
	v_fma_f32 v61, v41, 2.0, -v59
	v_fma_f32 v14, v45, 2.0, -v64
	;; [unrolled: 1-line block ×9, first 2 shown]
	v_sub_f32_e32 v41, v14, v41
	v_sub_f32_e32 v42, v15, v13
	v_add_f32_e32 v43, v64, v43
	v_sub_f32_e32 v44, v68, v16
	v_fma_f32 v13, v14, 2.0, -v41
	v_fma_f32 v14, v15, 2.0, -v42
	;; [unrolled: 1-line block ×4, first 2 shown]
	s_barrier
	ds_write2_b64 v83, v[49:50], v[53:54] offset1:16
	ds_write2_b64 v83, v[47:48], v[51:52] offset0:32 offset1:48
	ds_write2_b64 v84, v[57:58], v[61:62] offset1:16
	ds_write2_b64 v84, v[55:56], v[59:60] offset0:32 offset1:48
	;; [unrolled: 2-line block ×3, first 2 shown]
	s_waitcnt lgkmcnt(0)
	s_barrier
	ds_read2st64_b64 v[45:48], v76 offset1:12
	ds_read2st64_b64 v[57:60], v76 offset0:24 offset1:36
	ds_read2st64_b64 v[53:56], v76 offset0:48 offset1:60
	ds_read2st64_b64 v[49:52], v76 offset0:72 offset1:84
	s_and_saveexec_b64 s[12:13], s[2:3]
	s_cbranch_execz .LBB0_19
; %bb.18:
	ds_read2st64_b64 v[35:38], v76 offset0:68 offset1:80
	ds_read2st64_b64 v[13:16], v76 offset0:8 offset1:20
	ds_read2st64_b64 v[41:44], v76 offset0:32 offset1:44
	ds_read_b64 v[33:34], v77
	ds_read_b64 v[39:40], v76 offset:47104
.LBB0_19:
	s_or_b64 exec, exec, s[12:13]
	s_waitcnt lgkmcnt(3)
	v_mul_f32_e32 v61, v10, v48
	v_fmac_f32_e32 v61, v9, v47
	v_mul_f32_e32 v47, v10, v47
	v_fma_f32 v47, v9, v48, -v47
	s_waitcnt lgkmcnt(2)
	v_mul_f32_e32 v48, v12, v58
	v_fmac_f32_e32 v48, v11, v57
	v_mul_f32_e32 v57, v12, v57
	v_fma_f32 v57, v11, v58, -v57
	v_mul_f32_e32 v58, v2, v60
	v_fmac_f32_e32 v58, v1, v59
	v_mul_f32_e32 v59, v2, v59
	v_fma_f32 v59, v1, v60, -v59
	s_waitcnt lgkmcnt(1)
	v_mul_f32_e32 v60, v4, v54
	v_fmac_f32_e32 v60, v3, v53
	v_mul_f32_e32 v53, v4, v53
	v_fma_f32 v53, v3, v54, -v53
	;; [unrolled: 9-line block ×3, first 2 shown]
	v_mul_f32_e32 v50, v67, v52
	v_fmac_f32_e32 v50, v66, v51
	v_mul_f32_e32 v51, v67, v51
	v_fma_f32 v51, v66, v52, -v51
	v_sub_f32_e32 v52, v45, v60
	v_sub_f32_e32 v56, v48, v56
	;; [unrolled: 1-line block ×5, first 2 shown]
	v_fma_f32 v45, v45, 2.0, -v52
	v_sub_f32_e32 v49, v57, v49
	v_fma_f32 v48, v48, 2.0, -v56
	v_sub_f32_e32 v55, v47, v55
	;; [unrolled: 2-line block ×3, first 2 shown]
	v_fma_f32 v58, v58, 2.0, -v50
	v_fma_f32 v47, v47, 2.0, -v55
	;; [unrolled: 1-line block ×3, first 2 shown]
	v_sub_f32_e32 v61, v45, v48
	v_add_f32_e32 v63, v52, v49
	v_sub_f32_e32 v64, v53, v56
	v_sub_f32_e32 v56, v60, v58
	v_fma_f32 v46, v46, 2.0, -v53
	v_fma_f32 v48, v45, 2.0, -v61
	;; [unrolled: 1-line block ×4, first 2 shown]
	v_sub_f32_e32 v58, v47, v59
	v_fma_f32 v45, v60, 2.0, -v56
	v_add_f32_e32 v59, v54, v51
	v_sub_f32_e32 v60, v55, v50
	v_fma_f32 v57, v57, 2.0, -v49
	v_fma_f32 v51, v54, 2.0, -v59
	v_fma_f32 v54, v55, 2.0, -v60
	v_mov_b32_e32 v49, v52
	v_mov_b32_e32 v50, v53
	v_sub_f32_e32 v57, v46, v57
	v_fmac_f32_e32 v49, 0xbf3504f3, v51
	v_fmac_f32_e32 v50, 0xbf3504f3, v54
	;; [unrolled: 1-line block ×4, first 2 shown]
	v_sub_f32_e32 v54, v57, v56
	v_fma_f32 v62, v46, 2.0, -v57
	v_fma_f32 v46, v47, 2.0, -v58
	;; [unrolled: 1-line block ×4, first 2 shown]
	v_add_f32_e32 v53, v61, v58
	v_fma_f32 v56, v57, 2.0, -v54
	v_mov_b32_e32 v57, v63
	v_mov_b32_e32 v58, v64
	v_sub_f32_e32 v45, v48, v45
	v_sub_f32_e32 v46, v62, v46
	v_fmac_f32_e32 v57, 0x3f3504f3, v59
	v_fmac_f32_e32 v58, 0x3f3504f3, v60
	v_fma_f32 v47, v48, 2.0, -v45
	v_fma_f32 v48, v62, 2.0, -v46
	v_fmac_f32_e32 v57, 0x3f3504f3, v60
	v_fmac_f32_e32 v58, 0xbf3504f3, v59
	v_fma_f32 v55, v61, 2.0, -v53
	v_fma_f32 v59, v63, 2.0, -v57
	;; [unrolled: 1-line block ×3, first 2 shown]
	s_barrier
	ds_write2st64_b64 v88, v[47:48], v[51:52] offset1:1
	ds_write2st64_b64 v88, v[55:56], v[59:60] offset0:2 offset1:3
	ds_write2st64_b64 v88, v[45:46], v[49:50] offset0:4 offset1:5
	;; [unrolled: 1-line block ×3, first 2 shown]
	s_and_saveexec_b64 s[12:13], s[2:3]
	s_cbranch_execz .LBB0_21
; %bb.20:
	v_mul_f32_e32 v45, v4, v33
	v_fma_f32 v45, v3, v34, -v45
	v_sub_f32_e32 v46, v14, v45
	v_mul_f32_e32 v47, v12, v42
	v_mul_f32_e32 v45, v8, v38
	v_fmac_f32_e32 v47, v11, v41
	v_fmac_f32_e32 v45, v7, v37
	v_sub_f32_e32 v48, v47, v45
	v_mul_f32_e32 v45, v10, v15
	v_fma_f32 v50, v9, v16, -v45
	v_mul_f32_e32 v45, v6, v35
	v_mul_f32_e32 v52, v2, v44
	;; [unrolled: 1-line block ×3, first 2 shown]
	v_fma_f32 v45, v5, v36, -v45
	v_fmac_f32_e32 v52, v1, v43
	v_fma_f32 v43, v1, v44, -v2
	v_mul_f32_e32 v1, v67, v39
	v_sub_f32_e32 v51, v50, v45
	v_mul_f32_e32 v45, v67, v40
	v_fma_f32 v1, v66, v40, -v1
	v_fmac_f32_e32 v45, v66, v39
	v_sub_f32_e32 v39, v43, v1
	v_mul_f32_e32 v10, v10, v16
	v_mul_f32_e32 v1, v6, v36
	v_fmac_f32_e32 v10, v9, v15
	v_fmac_f32_e32 v1, v5, v35
	v_sub_f32_e32 v9, v10, v1
	v_mul_f32_e32 v1, v12, v41
	v_fma_f32 v5, v11, v42, -v1
	v_mul_f32_e32 v1, v8, v37
	v_fma_f32 v1, v7, v38, -v1
	v_sub_f32_e32 v6, v5, v1
	v_mul_f32_e32 v1, v4, v34
	v_fmac_f32_e32 v1, v3, v33
	v_sub_f32_e32 v7, v13, v1
	v_add_f32_e32 v11, v6, v7
	v_sub_f32_e32 v53, v52, v45
	v_add_f32_e32 v15, v39, v9
	v_mov_b32_e32 v44, v11
	v_sub_f32_e32 v54, v51, v53
	v_fmac_f32_e32 v44, 0x3f3504f3, v15
	v_fmac_f32_e32 v44, 0x3f3504f3, v54
	v_fma_f32 v12, v14, 2.0, -v46
	v_fma_f32 v3, v5, 2.0, -v6
	v_sub_f32_e32 v49, v46, v48
	v_fma_f32 v1, v11, 2.0, -v44
	v_sub_f32_e32 v14, v12, v3
	v_fma_f32 v16, v10, 2.0, -v9
	v_fma_f32 v3, v52, 2.0, -v53
	;; [unrolled: 1-line block ×3, first 2 shown]
	v_sub_f32_e32 v33, v16, v3
	v_fma_f32 v13, v13, 2.0, -v7
	v_fma_f32 v3, v47, 2.0, -v48
	;; [unrolled: 1-line block ×4, first 2 shown]
	v_mov_b32_e32 v7, v11
	v_sub_f32_e32 v34, v13, v3
	v_fma_f32 v35, v50, 2.0, -v51
	v_fma_f32 v3, v43, 2.0, -v39
	v_fma_f32 v37, v51, 2.0, -v54
	v_mov_b32_e32 v8, v10
	v_fmac_f32_e32 v7, 0xbf3504f3, v9
	v_sub_f32_e32 v36, v35, v3
	v_fmac_f32_e32 v8, 0xbf3504f3, v37
	v_fmac_f32_e32 v7, 0x3f3504f3, v37
	;; [unrolled: 1-line block ×3, first 2 shown]
	v_fma_f32 v9, v11, 2.0, -v7
	v_fma_f32 v11, v12, 2.0, -v14
	;; [unrolled: 1-line block ×3, first 2 shown]
	v_mov_b32_e32 v45, v49
	v_sub_f32_e32 v4, v14, v33
	v_sub_f32_e32 v12, v11, v12
	v_fmac_f32_e32 v45, 0x3f3504f3, v54
	v_fma_f32 v6, v14, 2.0, -v4
	v_fma_f32 v14, v11, 2.0, -v12
	;; [unrolled: 1-line block ×4, first 2 shown]
	s_movk_i32 s2, 0x1e00
	v_fmac_f32_e32 v45, 0xbf3504f3, v15
	v_sub_f32_e32 v11, v13, v11
	v_and_or_b32 v15, v86, s2, v81
	v_add_f32_e32 v3, v34, v36
	v_fma_f32 v10, v10, 2.0, -v8
	v_fma_f32 v13, v13, 2.0, -v11
	v_lshlrev_b32_e32 v15, 3, v15
	v_fma_f32 v2, v49, 2.0, -v45
	v_fma_f32 v5, v34, 2.0, -v3
	ds_write2st64_b64 v15, v[13:14], v[9:10] offset1:1
	ds_write2st64_b64 v15, v[5:6], v[1:2] offset0:2 offset1:3
	ds_write2st64_b64 v15, v[11:12], v[7:8] offset0:4 offset1:5
	;; [unrolled: 1-line block ×3, first 2 shown]
.LBB0_21:
	s_or_b64 exec, exec, s[12:13]
	s_waitcnt lgkmcnt(0)
	s_barrier
	ds_read2st64_b64 v[1:4], v76 offset1:8
	ds_read2st64_b64 v[5:8], v76 offset0:32 offset1:48
	ds_read2st64_b64 v[9:12], v76 offset0:64 offset1:72
	;; [unrolled: 1-line block ×3, first 2 shown]
	ds_read_b64 v[33:34], v76 offset:40960
	ds_read_b64 v[35:36], v78
	ds_read_b64 v[37:38], v79
	;; [unrolled: 1-line block ×3, first 2 shown]
	s_waitcnt lgkmcnt(6)
	v_mul_f32_e32 v41, v18, v6
	v_fmac_f32_e32 v41, v17, v5
	v_mul_f32_e32 v5, v18, v5
	v_fma_f32 v42, v17, v6, -v5
	s_waitcnt lgkmcnt(5)
	v_mul_f32_e32 v43, v20, v10
	v_mul_f32_e32 v5, v20, v9
	v_fmac_f32_e32 v43, v19, v9
	v_fma_f32 v9, v19, v10, -v5
	s_waitcnt lgkmcnt(1)
	v_mul_f32_e32 v44, v18, v38
	v_mul_f32_e32 v5, v18, v37
	v_fmac_f32_e32 v44, v17, v37
	v_fma_f32 v37, v17, v38, -v5
	v_mul_f32_e32 v5, v20, v11
	v_mul_f32_e32 v38, v20, v12
	v_fma_f32 v12, v19, v12, -v5
	v_mul_f32_e32 v5, v18, v7
	v_fma_f32 v46, v17, v8, -v5
	v_mul_f32_e32 v47, v20, v34
	v_mul_f32_e32 v5, v20, v33
	v_fmac_f32_e32 v47, v19, v33
	v_fma_f32 v33, v19, v34, -v5
	s_waitcnt lgkmcnt(0)
	v_mul_f32_e32 v48, v18, v40
	v_mul_f32_e32 v5, v18, v39
	v_fmac_f32_e32 v48, v17, v39
	v_fma_f32 v39, v17, v40, -v5
	v_mul_f32_e32 v5, v20, v35
	v_add_f32_e32 v6, v41, v43
	v_mul_f32_e32 v45, v18, v8
	v_mul_f32_e32 v40, v20, v36
	v_fma_f32 v36, v19, v36, -v5
	v_add_f32_e32 v5, v1, v41
	v_fma_f32 v1, -0.5, v6, v1
	v_fmac_f32_e32 v45, v17, v7
	v_sub_f32_e32 v6, v42, v9
	v_mov_b32_e32 v7, v1
	v_add_f32_e32 v8, v42, v9
	v_fmac_f32_e32 v38, v19, v11
	v_fmac_f32_e32 v7, 0xbf5db3d7, v6
	;; [unrolled: 1-line block ×3, first 2 shown]
	v_add_f32_e32 v6, v2, v42
	v_fma_f32 v2, -0.5, v8, v2
	v_add_f32_e32 v6, v6, v9
	v_sub_f32_e32 v9, v41, v43
	v_mov_b32_e32 v8, v2
	v_add_f32_e32 v10, v44, v38
	v_fmac_f32_e32 v8, 0x3f5db3d7, v9
	v_fmac_f32_e32 v2, 0xbf5db3d7, v9
	v_add_f32_e32 v9, v3, v44
	v_fma_f32 v3, -0.5, v10, v3
	v_sub_f32_e32 v10, v37, v12
	v_mov_b32_e32 v11, v3
	v_fmac_f32_e32 v11, 0xbf5db3d7, v10
	v_fmac_f32_e32 v3, 0x3f5db3d7, v10
	v_add_f32_e32 v10, v4, v37
	v_add_f32_e32 v10, v10, v12
	;; [unrolled: 1-line block ×3, first 2 shown]
	v_fmac_f32_e32 v4, -0.5, v12
	v_sub_f32_e32 v17, v44, v38
	v_mov_b32_e32 v12, v4
	v_add_f32_e32 v18, v45, v47
	v_fmac_f32_e32 v12, 0x3f5db3d7, v17
	v_fmac_f32_e32 v4, 0xbf5db3d7, v17
	v_add_f32_e32 v17, v13, v45
	v_fma_f32 v13, -0.5, v18, v13
	v_fmac_f32_e32 v40, v19, v35
	v_sub_f32_e32 v18, v46, v33
	v_mov_b32_e32 v19, v13
	v_add_f32_e32 v20, v46, v33
	v_fmac_f32_e32 v19, 0xbf5db3d7, v18
	v_fmac_f32_e32 v13, 0x3f5db3d7, v18
	v_add_f32_e32 v18, v14, v46
	v_fma_f32 v14, -0.5, v20, v14
	v_add_f32_e32 v18, v18, v33
	v_sub_f32_e32 v33, v45, v47
	v_mov_b32_e32 v20, v14
	v_add_f32_e32 v34, v48, v40
	v_fmac_f32_e32 v20, 0x3f5db3d7, v33
	v_fmac_f32_e32 v14, 0xbf5db3d7, v33
	v_add_f32_e32 v33, v15, v48
	v_fma_f32 v15, -0.5, v34, v15
	v_sub_f32_e32 v34, v39, v36
	v_mov_b32_e32 v35, v15
	v_fmac_f32_e32 v35, 0xbf5db3d7, v34
	v_fmac_f32_e32 v15, 0x3f5db3d7, v34
	v_add_f32_e32 v34, v16, v39
	v_add_f32_e32 v34, v34, v36
	;; [unrolled: 1-line block ×3, first 2 shown]
	v_fmac_f32_e32 v16, -0.5, v36
	v_sub_f32_e32 v37, v48, v40
	v_mov_b32_e32 v36, v16
	v_add_f32_e32 v5, v5, v43
	v_add_f32_e32 v9, v9, v38
	;; [unrolled: 1-line block ×4, first 2 shown]
	v_fmac_f32_e32 v36, 0x3f5db3d7, v37
	v_fmac_f32_e32 v16, 0xbf5db3d7, v37
	s_barrier
	ds_write2st64_b64 v76, v[5:6], v[7:8] offset1:8
	ds_write2st64_b64 v76, v[1:2], v[9:10] offset0:16 offset1:24
	ds_write_b64 v79, v[3:4]
	ds_write2st64_b64 v76, v[11:12], v[17:18] offset0:32 offset1:48
	ds_write_b64 v77, v[19:20]
	ds_write2st64_b64 v76, v[13:14], v[33:34] offset0:64 offset1:72
	ds_write_b64 v76, v[35:36] offset:40960
	ds_write_b64 v78, v[15:16]
	s_waitcnt lgkmcnt(0)
	s_barrier
	ds_read2st64_b64 v[1:4], v76 offset1:8
	ds_read2st64_b64 v[5:8], v76 offset0:16 offset1:24
	ds_read2st64_b64 v[9:12], v76 offset0:32 offset1:48
	;; [unrolled: 1-line block ×3, first 2 shown]
	ds_read_b64 v[17:18], v77
	ds_read_b64 v[19:20], v79
	ds_read_b64 v[33:34], v76 offset:40960
	ds_read_b64 v[35:36], v78
	s_waitcnt lgkmcnt(6)
	v_mul_f32_e32 v37, v22, v8
	v_fmac_f32_e32 v37, v21, v7
	v_mul_f32_e32 v7, v22, v7
	v_fma_f32 v7, v21, v8, -v7
	s_waitcnt lgkmcnt(5)
	v_mul_f32_e32 v8, v24, v12
	v_fmac_f32_e32 v8, v23, v11
	v_mul_f32_e32 v11, v24, v11
	v_fma_f32 v11, v23, v12, -v11
	;; [unrolled: 5-line block ×3, first 2 shown]
	v_mul_f32_e32 v16, v26, v10
	v_fmac_f32_e32 v16, v25, v9
	v_mul_f32_e32 v9, v26, v9
	v_fma_f32 v21, v25, v10, -v9
	s_waitcnt lgkmcnt(3)
	v_mul_f32_e32 v22, v28, v18
	v_mul_f32_e32 v9, v28, v17
	v_fmac_f32_e32 v22, v27, v17
	v_fma_f32 v17, v27, v18, -v9
	s_waitcnt lgkmcnt(1)
	v_mul_f32_e32 v9, v73, v33
	v_fma_f32 v23, v72, v34, -v9
	v_mul_f32_e32 v24, v30, v20
	v_mul_f32_e32 v9, v30, v19
	v_fmac_f32_e32 v24, v29, v19
	v_fma_f32 v19, v29, v20, -v9
	v_mul_f32_e32 v20, v32, v14
	v_mul_f32_e32 v9, v32, v13
	v_fmac_f32_e32 v20, v31, v13
	v_fma_f32 v25, v31, v14, -v9
	s_waitcnt lgkmcnt(0)
	v_mul_f32_e32 v9, v75, v35
	v_sub_f32_e32 v13, v1, v8
	v_sub_f32_e32 v14, v2, v11
	;; [unrolled: 1-line block ×4, first 2 shown]
	v_mul_f32_e32 v18, v73, v34
	v_fma_f32 v27, v74, v36, -v9
	v_fma_f32 v8, v1, 2.0, -v13
	v_fma_f32 v9, v2, 2.0, -v14
	;; [unrolled: 1-line block ×4, first 2 shown]
	v_fmac_f32_e32 v18, v72, v33
	v_mul_f32_e32 v26, v75, v36
	v_sub_f32_e32 v1, v8, v1
	v_sub_f32_e32 v2, v9, v2
	;; [unrolled: 1-line block ×6, first 2 shown]
	v_fmac_f32_e32 v26, v74, v35
	v_fma_f32 v7, v8, 2.0, -v1
	v_fma_f32 v8, v9, 2.0, -v2
	v_add_f32_e32 v9, v13, v11
	v_fma_f32 v12, v14, 2.0, -v10
	v_fma_f32 v14, v4, 2.0, -v28
	v_sub_f32_e32 v17, v16, v18
	v_fma_f32 v4, v21, 2.0, -v15
	v_add_f32_e32 v15, v22, v15
	v_fma_f32 v11, v13, 2.0, -v9
	v_fma_f32 v13, v3, 2.0, -v22
	;; [unrolled: 1-line block ×3, first 2 shown]
	v_sub_f32_e32 v16, v28, v17
	v_fma_f32 v17, v22, 2.0, -v15
	v_sub_f32_e32 v23, v5, v20
	v_sub_f32_e32 v25, v6, v25
	;; [unrolled: 1-line block ×4, first 2 shown]
	v_fma_f32 v20, v5, 2.0, -v23
	v_fma_f32 v21, v6, 2.0, -v25
	;; [unrolled: 1-line block ×4, first 2 shown]
	v_sub_f32_e32 v3, v13, v3
	v_sub_f32_e32 v4, v14, v4
	v_sub_f32_e32 v5, v20, v5
	v_sub_f32_e32 v6, v21, v6
	v_fma_f32 v13, v13, 2.0, -v3
	v_fma_f32 v14, v14, 2.0, -v4
	;; [unrolled: 1-line block ×4, first 2 shown]
	v_add_f32_e32 v21, v23, v26
	v_sub_f32_e32 v22, v25, v22
	v_fma_f32 v18, v28, 2.0, -v16
	v_fma_f32 v23, v23, 2.0, -v21
	;; [unrolled: 1-line block ×3, first 2 shown]
	ds_write2st64_b64 v76, v[7:8], v[13:14] offset1:8
	ds_write2st64_b64 v76, v[17:18], v[1:2] offset0:32 offset1:48
	ds_write_b64 v77, v[3:4]
	ds_write_b64 v76, v[15:16] offset:40960
	ds_write2st64_b64 v76, v[19:20], v[11:12] offset0:16 offset1:24
	ds_write_b64 v79, v[23:24]
	ds_write2st64_b64 v76, v[5:6], v[9:10] offset0:64 offset1:72
	ds_write_b64 v78, v[21:22]
	s_waitcnt lgkmcnt(0)
	s_barrier
	s_and_b64 exec, exec, s[0:1]
	s_cbranch_execz .LBB0_23
; %bb.22:
	v_mov_b32_e32 v4, s9
	v_add_co_u32_e32 v3, vcc, s8, v76
	s_movk_i32 s0, 0x1000
	v_addc_co_u32_e32 v4, vcc, 0, v4, vcc
	v_add_co_u32_e32 v5, vcc, s0, v3
	v_mad_u64_u32 v[17:18], s[0:1], s6, v65, 0
	v_addc_co_u32_e32 v6, vcc, 0, v4, vcc
	s_movk_i32 s0, 0x2000
	global_load_dwordx2 v[15:16], v[5:6], off offset:2048
	v_add_co_u32_e32 v5, vcc, s0, v3
	v_addc_co_u32_e32 v6, vcc, 0, v4, vcc
	global_load_dwordx2 v[19:20], v[5:6], off offset:1024
	global_load_dwordx2 v[23:24], v87, s[8:9]
	global_load_dwordx2 v[25:26], v82, s[8:9]
	;; [unrolled: 1-line block ×3, first 2 shown]
	global_load_dwordx2 v[13:14], v76, s[8:9] offset:3072
	v_mad_u64_u32 v[21:22], s[2:3], s4, v0, 0
	s_mul_i32 s3, s5, 0xc00
	s_mul_hi_u32 s6, s4, 0xc00
	s_add_i32 s3, s6, s3
	s_mul_i32 s2, s4, 0xc00
	s_movk_i32 s4, 0x3000
	v_add_co_u32_e32 v27, vcc, s4, v3
	ds_read2st64_b64 v[5:8], v76 offset1:6
	v_mov_b32_e32 v37, s11
	s_movk_i32 s11, 0x4000
	v_addc_co_u32_e32 v28, vcc, 0, v4, vcc
	v_add_co_u32_e32 v29, vcc, s11, v3
	v_addc_co_u32_e32 v30, vcc, 0, v4, vcc
	ds_read2st64_b64 v[9:12], v76 offset0:12 offset1:18
	s_mov_b32 s0, 0x55555555
	s_mov_b32 s1, 0x3f255555
	v_mov_b32_e32 v38, s3
	s_waitcnt vmcnt(4)
	v_mad_u64_u32 v[31:32], s[6:7], s7, v65, v[18:19]
	s_waitcnt vmcnt(3)
	v_mad_u64_u32 v[32:33], s[4:5], s5, v0, v[22:23]
	v_mov_b32_e32 v18, v31
	v_lshlrev_b64 v[17:18], 3, v[17:18]
	v_mov_b32_e32 v22, v32
	v_lshlrev_b64 v[21:22], 3, v[21:22]
	v_add_co_u32_e32 v0, vcc, s10, v17
	v_addc_co_u32_e32 v18, vcc, v37, v18, vcc
	v_add_co_u32_e32 v17, vcc, v0, v21
	s_waitcnt vmcnt(1) lgkmcnt(1)
	v_mul_f32_e32 v0, v6, v2
	v_mul_f32_e32 v2, v5, v2
	s_waitcnt vmcnt(0)
	v_mul_f32_e32 v21, v8, v14
	global_load_dwordx2 v[33:34], v[27:28], off offset:3072
	global_load_dwordx2 v[35:36], v[29:30], off offset:2048
	v_mul_f32_e32 v14, v7, v14
	v_fmac_f32_e32 v0, v5, v1
	v_fma_f32 v2, v1, v6, -v2
	v_fmac_f32_e32 v21, v7, v13
	v_fma_f32 v13, v13, v8, -v14
	v_cvt_f64_f32_e32 v[0:1], v0
	v_cvt_f64_f32_e32 v[5:6], v2
	;; [unrolled: 1-line block ×4, first 2 shown]
	v_mul_f64 v[0:1], v[0:1], s[0:1]
	v_mul_f64 v[5:6], v[5:6], s[0:1]
	;; [unrolled: 1-line block ×4, first 2 shown]
	s_waitcnt lgkmcnt(0)
	v_mul_f32_e32 v2, v10, v16
	v_fmac_f32_e32 v2, v9, v15
	v_addc_co_u32_e32 v18, vcc, v18, v22, vcc
	v_cvt_f64_f32_e32 v[21:22], v2
	v_mul_f32_e32 v2, v9, v16
	v_fma_f32 v2, v15, v10, -v2
	v_cvt_f32_f64_e32 v0, v[0:1]
	v_cvt_f32_f64_e32 v1, v[5:6]
	;; [unrolled: 1-line block ×3, first 2 shown]
	v_cvt_f64_f32_e32 v[7:8], v2
	v_cvt_f32_f64_e32 v6, v[13:14]
	v_add_co_u32_e32 v27, vcc, s2, v17
	v_addc_co_u32_e32 v28, vcc, v18, v38, vcc
	v_mul_f32_e32 v2, v12, v20
	s_movk_i32 s4, 0x5000
	global_store_dwordx2 v[17:18], v[0:1], off
	global_store_dwordx2 v[27:28], v[5:6], off
	v_mul_f64 v[0:1], v[7:8], s[0:1]
	v_fmac_f32_e32 v2, v11, v19
	v_add_co_u32_e32 v7, vcc, s4, v3
	v_cvt_f64_f32_e32 v[5:6], v2
	v_mul_f32_e32 v2, v11, v20
	v_addc_co_u32_e32 v8, vcc, 0, v4, vcc
	v_mul_f64 v[21:22], v[21:22], s[0:1]
	v_fma_f32 v2, v19, v12, -v2
	global_load_dwordx2 v[11:12], v[7:8], off offset:1024
	v_cvt_f64_f32_e32 v[7:8], v2
	v_cvt_f32_f64_e32 v10, v[0:1]
	v_mul_f64 v[0:1], v[5:6], s[0:1]
	v_mov_b32_e32 v2, s3
	v_mul_f64 v[13:14], v[7:8], s[0:1]
	ds_read2st64_b64 v[5:8], v76 offset0:24 offset1:30
	v_cvt_f32_f64_e32 v9, v[21:22]
	v_add_co_u32_e32 v15, vcc, s2, v27
	v_addc_co_u32_e32 v16, vcc, v28, v2, vcc
	global_store_dwordx2 v[15:16], v[9:10], off
	s_waitcnt lgkmcnt(0)
	v_mul_f32_e32 v9, v6, v24
	v_fmac_f32_e32 v9, v5, v23
	v_cvt_f32_f64_e32 v0, v[0:1]
	v_cvt_f32_f64_e32 v1, v[13:14]
	v_cvt_f64_f32_e32 v[9:10], v9
	v_add_co_u32_e32 v13, vcc, s2, v15
	v_addc_co_u32_e32 v14, vcc, v16, v2, vcc
	s_movk_i32 s4, 0x6000
	global_store_dwordx2 v[13:14], v[0:1], off
	v_mul_f64 v[0:1], v[9:10], s[0:1]
	v_add_co_u32_e32 v9, vcc, s4, v3
	v_addc_co_u32_e32 v10, vcc, 0, v4, vcc
	global_load_dwordx2 v[9:10], v[9:10], off offset:3072
	s_movk_i32 s4, 0x7000
	v_add_co_u32_e32 v19, vcc, s4, v3
	v_addc_co_u32_e32 v20, vcc, 0, v4, vcc
	global_load_dwordx2 v[19:20], v[19:20], off offset:2048
	v_add_co_u32_e32 v13, vcc, s2, v13
	v_addc_co_u32_e32 v14, vcc, v14, v2, vcc
	s_mov_b32 s4, 0x8000
	v_add_co_u32_e32 v21, vcc, s4, v3
	v_addc_co_u32_e32 v22, vcc, 0, v4, vcc
	global_load_dwordx2 v[21:22], v[21:22], off offset:1024
	v_mul_f32_e32 v5, v5, v24
	v_fma_f32 v5, v23, v6, -v5
	v_cvt_f64_f32_e32 v[5:6], v5
	v_cvt_f32_f64_e32 v0, v[0:1]
	s_mov_b32 s4, 0x9000
	v_mul_f64 v[5:6], v[5:6], s[0:1]
	v_cvt_f32_f64_e32 v1, v[5:6]
	s_waitcnt vmcnt(9)
	v_mul_f32_e32 v5, v8, v34
	v_fmac_f32_e32 v5, v7, v33
	v_cvt_f64_f32_e32 v[15:16], v5
	v_mul_f32_e32 v5, v7, v34
	v_fma_f32 v5, v33, v8, -v5
	v_cvt_f64_f32_e32 v[17:18], v5
	ds_read2st64_b64 v[5:8], v76 offset0:36 offset1:42
	global_store_dwordx2 v[13:14], v[0:1], off
	v_mul_f64 v[0:1], v[15:16], s[0:1]
	v_mul_f64 v[15:16], v[17:18], s[0:1]
	v_add_co_u32_e32 v13, vcc, s2, v13
	s_waitcnt vmcnt(9) lgkmcnt(0)
	v_mul_f32_e32 v2, v6, v36
	v_fmac_f32_e32 v2, v5, v35
	v_mul_f32_e32 v5, v5, v36
	v_fma_f32 v5, v35, v6, -v5
	v_cvt_f64_f32_e32 v[17:18], v2
	v_cvt_f32_f64_e32 v0, v[0:1]
	v_cvt_f32_f64_e32 v1, v[15:16]
	v_cvt_f64_f32_e32 v[5:6], v5
	v_mov_b32_e32 v2, s3
	v_addc_co_u32_e32 v14, vcc, v14, v2, vcc
	v_mul_f64 v[15:16], v[17:18], s[0:1]
	global_store_dwordx2 v[13:14], v[0:1], off
	v_mul_f64 v[0:1], v[5:6], s[0:1]
	s_waitcnt vmcnt(7)
	v_mul_f32_e32 v2, v8, v12
	v_fmac_f32_e32 v2, v7, v11
	v_cvt_f64_f32_e32 v[5:6], v2
	v_mul_f32_e32 v2, v7, v12
	v_fma_f32 v2, v11, v8, -v2
	v_cvt_f64_f32_e32 v[7:8], v2
	v_cvt_f32_f64_e32 v15, v[15:16]
	v_cvt_f32_f64_e32 v16, v[0:1]
	v_mul_f64 v[0:1], v[5:6], s[0:1]
	v_mul_f64 v[11:12], v[7:8], s[0:1]
	ds_read2st64_b64 v[5:8], v76 offset0:48 offset1:54
	v_mov_b32_e32 v2, s3
	v_add_co_u32_e32 v13, vcc, s2, v13
	v_addc_co_u32_e32 v14, vcc, v14, v2, vcc
	s_waitcnt lgkmcnt(0)
	v_mul_f32_e32 v2, v6, v26
	v_fmac_f32_e32 v2, v5, v25
	v_mul_f32_e32 v5, v5, v26
	v_fma_f32 v5, v25, v6, -v5
	global_store_dwordx2 v[13:14], v[15:16], off
	v_cvt_f64_f32_e32 v[15:16], v2
	v_cvt_f32_f64_e32 v0, v[0:1]
	v_cvt_f32_f64_e32 v1, v[11:12]
	v_cvt_f64_f32_e32 v[5:6], v5
	v_mov_b32_e32 v2, s3
	v_add_co_u32_e32 v13, vcc, s2, v13
	v_addc_co_u32_e32 v14, vcc, v14, v2, vcc
	v_mul_f64 v[11:12], v[15:16], s[0:1]
	global_store_dwordx2 v[13:14], v[0:1], off
	v_mul_f64 v[0:1], v[5:6], s[0:1]
	s_waitcnt vmcnt(6)
	v_mul_f32_e32 v2, v8, v10
	v_fmac_f32_e32 v2, v7, v9
	v_cvt_f64_f32_e32 v[5:6], v2
	v_mul_f32_e32 v2, v7, v10
	v_fma_f32 v2, v9, v8, -v2
	v_cvt_f64_f32_e32 v[7:8], v2
	v_cvt_f32_f64_e32 v11, v[11:12]
	v_cvt_f32_f64_e32 v12, v[0:1]
	v_mul_f64 v[0:1], v[5:6], s[0:1]
	v_mul_f64 v[9:10], v[7:8], s[0:1]
	ds_read2st64_b64 v[5:8], v76 offset0:60 offset1:66
	v_mov_b32_e32 v2, s3
	v_add_co_u32_e32 v13, vcc, s2, v13
	v_addc_co_u32_e32 v14, vcc, v14, v2, vcc
	v_cvt_f32_f64_e32 v0, v[0:1]
	v_cvt_f32_f64_e32 v1, v[9:10]
	s_waitcnt vmcnt(5) lgkmcnt(0)
	v_mul_f32_e32 v9, v6, v20
	v_fmac_f32_e32 v9, v5, v19
	v_mul_f32_e32 v5, v5, v20
	v_fma_f32 v5, v19, v6, -v5
	v_cvt_f64_f32_e32 v[9:10], v9
	v_cvt_f64_f32_e32 v[5:6], v5
	global_store_dwordx2 v[13:14], v[11:12], off
	v_add_co_u32_e32 v11, vcc, s2, v13
	v_addc_co_u32_e32 v12, vcc, v14, v2, vcc
	global_store_dwordx2 v[11:12], v[0:1], off
	v_mul_f64 v[0:1], v[9:10], s[0:1]
	v_mul_f64 v[5:6], v[5:6], s[0:1]
	s_waitcnt vmcnt(6)
	v_mul_f32_e32 v2, v8, v22
	v_fmac_f32_e32 v2, v7, v21
	v_cvt_f64_f32_e32 v[9:10], v2
	v_mul_f32_e32 v2, v7, v22
	v_fma_f32 v2, v21, v8, -v2
	v_cvt_f64_f32_e32 v[7:8], v2
	v_cvt_f32_f64_e32 v0, v[0:1]
	v_cvt_f32_f64_e32 v1, v[5:6]
	v_mul_f64 v[5:6], v[9:10], s[0:1]
	v_mul_f64 v[7:8], v[7:8], s[0:1]
	v_mov_b32_e32 v2, s3
	v_add_co_u32_e32 v9, vcc, s2, v11
	v_addc_co_u32_e32 v10, vcc, v12, v2, vcc
	global_store_dwordx2 v[9:10], v[0:1], off
	v_cvt_f32_f64_e32 v0, v[5:6]
	v_cvt_f32_f64_e32 v1, v[7:8]
	v_add_co_u32_e32 v9, vcc, s2, v9
	v_addc_co_u32_e32 v10, vcc, v10, v2, vcc
	global_store_dwordx2 v[9:10], v[0:1], off
	global_load_dwordx2 v[0:1], v80, s[8:9]
	ds_read2st64_b64 v[5:8], v76 offset0:72 offset1:78
	s_waitcnt vmcnt(0) lgkmcnt(0)
	v_mul_f32_e32 v2, v6, v1
	v_mul_f32_e32 v1, v5, v1
	v_fmac_f32_e32 v2, v5, v0
	v_fma_f32 v0, v0, v6, -v1
	v_cvt_f64_f32_e32 v[11:12], v2
	v_cvt_f64_f32_e32 v[0:1], v0
	v_mul_f64 v[5:6], v[11:12], s[0:1]
	v_mul_f64 v[0:1], v[0:1], s[0:1]
	v_mov_b32_e32 v11, s3
	v_cvt_f32_f64_e32 v5, v[5:6]
	v_cvt_f32_f64_e32 v6, v[0:1]
	v_mov_b32_e32 v1, s3
	v_add_co_u32_e32 v0, vcc, s2, v9
	v_addc_co_u32_e32 v1, vcc, v10, v1, vcc
	global_store_dwordx2 v[0:1], v[5:6], off
	v_add_co_u32_e32 v5, vcc, s4, v3
	v_addc_co_u32_e32 v6, vcc, 0, v4, vcc
	global_load_dwordx2 v[5:6], v[5:6], off offset:3072
	v_add_co_u32_e32 v0, vcc, s2, v0
	s_mov_b32 s4, 0xa000
	s_waitcnt vmcnt(0)
	v_mul_f32_e32 v2, v8, v6
	v_fmac_f32_e32 v2, v7, v5
	v_cvt_f64_f32_e32 v[9:10], v2
	v_mul_f32_e32 v2, v7, v6
	v_fma_f32 v2, v5, v8, -v2
	v_cvt_f64_f32_e32 v[5:6], v2
	v_mul_f64 v[7:8], v[9:10], s[0:1]
	v_mov_b32_e32 v2, s3
	v_addc_co_u32_e32 v1, vcc, v1, v2, vcc
	v_mul_f64 v[5:6], v[5:6], s[0:1]
	v_cvt_f32_f64_e32 v7, v[7:8]
	v_cvt_f32_f64_e32 v8, v[5:6]
	v_add_co_u32_e32 v5, vcc, s4, v3
	v_addc_co_u32_e32 v6, vcc, 0, v4, vcc
	global_store_dwordx2 v[0:1], v[7:8], off
	global_load_dwordx2 v[9:10], v[5:6], off offset:2048
	ds_read2st64_b64 v[5:8], v76 offset0:84 offset1:90
	s_mov_b32 s4, 0xb000
	s_waitcnt vmcnt(0) lgkmcnt(0)
	v_mul_f32_e32 v2, v6, v10
	v_mul_f32_e32 v10, v5, v10
	v_fmac_f32_e32 v2, v5, v9
	v_fma_f32 v9, v9, v6, -v10
	v_cvt_f64_f32_e32 v[5:6], v2
	v_cvt_f64_f32_e32 v[9:10], v9
	v_add_co_u32_e32 v2, vcc, s4, v3
	v_mul_f64 v[5:6], v[5:6], s[0:1]
	v_mul_f64 v[9:10], v[9:10], s[0:1]
	v_addc_co_u32_e32 v3, vcc, 0, v4, vcc
	v_add_co_u32_e32 v0, vcc, s2, v0
	v_addc_co_u32_e32 v1, vcc, v1, v11, vcc
	v_cvt_f32_f64_e32 v4, v[5:6]
	v_cvt_f32_f64_e32 v5, v[9:10]
	v_mov_b32_e32 v6, s3
	global_store_dwordx2 v[0:1], v[4:5], off
	global_load_dwordx2 v[2:3], v[2:3], off offset:1024
	v_add_co_u32_e32 v0, vcc, s2, v0
	v_addc_co_u32_e32 v1, vcc, v1, v6, vcc
	s_waitcnt vmcnt(0)
	v_mul_f32_e32 v4, v8, v3
	v_mul_f32_e32 v3, v7, v3
	v_fmac_f32_e32 v4, v7, v2
	v_fma_f32 v5, v2, v8, -v3
	v_cvt_f64_f32_e32 v[2:3], v4
	v_cvt_f64_f32_e32 v[4:5], v5
	v_mul_f64 v[2:3], v[2:3], s[0:1]
	v_mul_f64 v[4:5], v[4:5], s[0:1]
	v_cvt_f32_f64_e32 v2, v[2:3]
	v_cvt_f32_f64_e32 v3, v[4:5]
	global_store_dwordx2 v[0:1], v[2:3], off
.LBB0_23:
	s_endpgm
	.section	.rodata,"a",@progbits
	.p2align	6, 0x0
	.amdhsa_kernel bluestein_single_back_len6144_dim1_sp_op_CI_CI
		.amdhsa_group_segment_fixed_size 49152
		.amdhsa_private_segment_fixed_size 0
		.amdhsa_kernarg_size 104
		.amdhsa_user_sgpr_count 6
		.amdhsa_user_sgpr_private_segment_buffer 1
		.amdhsa_user_sgpr_dispatch_ptr 0
		.amdhsa_user_sgpr_queue_ptr 0
		.amdhsa_user_sgpr_kernarg_segment_ptr 1
		.amdhsa_user_sgpr_dispatch_id 0
		.amdhsa_user_sgpr_flat_scratch_init 0
		.amdhsa_user_sgpr_private_segment_size 0
		.amdhsa_uses_dynamic_stack 0
		.amdhsa_system_sgpr_private_segment_wavefront_offset 0
		.amdhsa_system_sgpr_workgroup_id_x 1
		.amdhsa_system_sgpr_workgroup_id_y 0
		.amdhsa_system_sgpr_workgroup_id_z 0
		.amdhsa_system_sgpr_workgroup_info 0
		.amdhsa_system_vgpr_workitem_id 0
		.amdhsa_next_free_vgpr 110
		.amdhsa_next_free_sgpr 20
		.amdhsa_reserve_vcc 1
		.amdhsa_reserve_flat_scratch 0
		.amdhsa_float_round_mode_32 0
		.amdhsa_float_round_mode_16_64 0
		.amdhsa_float_denorm_mode_32 3
		.amdhsa_float_denorm_mode_16_64 3
		.amdhsa_dx10_clamp 1
		.amdhsa_ieee_mode 1
		.amdhsa_fp16_overflow 0
		.amdhsa_exception_fp_ieee_invalid_op 0
		.amdhsa_exception_fp_denorm_src 0
		.amdhsa_exception_fp_ieee_div_zero 0
		.amdhsa_exception_fp_ieee_overflow 0
		.amdhsa_exception_fp_ieee_underflow 0
		.amdhsa_exception_fp_ieee_inexact 0
		.amdhsa_exception_int_div_zero 0
	.end_amdhsa_kernel
	.text
.Lfunc_end0:
	.size	bluestein_single_back_len6144_dim1_sp_op_CI_CI, .Lfunc_end0-bluestein_single_back_len6144_dim1_sp_op_CI_CI
                                        ; -- End function
	.section	.AMDGPU.csdata,"",@progbits
; Kernel info:
; codeLenInByte = 12912
; NumSgprs: 24
; NumVgprs: 110
; ScratchSize: 0
; MemoryBound: 0
; FloatMode: 240
; IeeeMode: 1
; LDSByteSize: 49152 bytes/workgroup (compile time only)
; SGPRBlocks: 2
; VGPRBlocks: 27
; NumSGPRsForWavesPerEU: 24
; NumVGPRsForWavesPerEU: 110
; Occupancy: 2
; WaveLimiterHint : 1
; COMPUTE_PGM_RSRC2:SCRATCH_EN: 0
; COMPUTE_PGM_RSRC2:USER_SGPR: 6
; COMPUTE_PGM_RSRC2:TRAP_HANDLER: 0
; COMPUTE_PGM_RSRC2:TGID_X_EN: 1
; COMPUTE_PGM_RSRC2:TGID_Y_EN: 0
; COMPUTE_PGM_RSRC2:TGID_Z_EN: 0
; COMPUTE_PGM_RSRC2:TIDIG_COMP_CNT: 0
	.type	__hip_cuid_f9caa1b0a950e43e,@object ; @__hip_cuid_f9caa1b0a950e43e
	.section	.bss,"aw",@nobits
	.globl	__hip_cuid_f9caa1b0a950e43e
__hip_cuid_f9caa1b0a950e43e:
	.byte	0                               ; 0x0
	.size	__hip_cuid_f9caa1b0a950e43e, 1

	.ident	"AMD clang version 19.0.0git (https://github.com/RadeonOpenCompute/llvm-project roc-6.4.0 25133 c7fe45cf4b819c5991fe208aaa96edf142730f1d)"
	.section	".note.GNU-stack","",@progbits
	.addrsig
	.addrsig_sym __hip_cuid_f9caa1b0a950e43e
	.amdgpu_metadata
---
amdhsa.kernels:
  - .args:
      - .actual_access:  read_only
        .address_space:  global
        .offset:         0
        .size:           8
        .value_kind:     global_buffer
      - .actual_access:  read_only
        .address_space:  global
        .offset:         8
        .size:           8
        .value_kind:     global_buffer
      - .actual_access:  read_only
        .address_space:  global
        .offset:         16
        .size:           8
        .value_kind:     global_buffer
      - .actual_access:  read_only
        .address_space:  global
        .offset:         24
        .size:           8
        .value_kind:     global_buffer
      - .actual_access:  read_only
        .address_space:  global
        .offset:         32
        .size:           8
        .value_kind:     global_buffer
      - .offset:         40
        .size:           8
        .value_kind:     by_value
      - .address_space:  global
        .offset:         48
        .size:           8
        .value_kind:     global_buffer
      - .address_space:  global
        .offset:         56
        .size:           8
        .value_kind:     global_buffer
      - .address_space:  global
        .offset:         64
        .size:           8
        .value_kind:     global_buffer
      - .address_space:  global
        .offset:         72
        .size:           8
        .value_kind:     global_buffer
      - .offset:         80
        .size:           4
        .value_kind:     by_value
      - .address_space:  global
        .offset:         88
        .size:           8
        .value_kind:     global_buffer
      - .address_space:  global
        .offset:         96
        .size:           8
        .value_kind:     global_buffer
    .group_segment_fixed_size: 49152
    .kernarg_segment_align: 8
    .kernarg_segment_size: 104
    .language:       OpenCL C
    .language_version:
      - 2
      - 0
    .max_flat_workgroup_size: 512
    .name:           bluestein_single_back_len6144_dim1_sp_op_CI_CI
    .private_segment_fixed_size: 0
    .sgpr_count:     24
    .sgpr_spill_count: 0
    .symbol:         bluestein_single_back_len6144_dim1_sp_op_CI_CI.kd
    .uniform_work_group_size: 1
    .uses_dynamic_stack: false
    .vgpr_count:     110
    .vgpr_spill_count: 0
    .wavefront_size: 64
amdhsa.target:   amdgcn-amd-amdhsa--gfx906
amdhsa.version:
  - 1
  - 2
...

	.end_amdgpu_metadata
